;; amdgpu-corpus repo=ROCm/rccl kind=compiled arch=gfx906 opt=O3
	.amdgcn_target "amdgcn-amd-amdhsa--gfx906"
	.amdhsa_code_object_version 6
	.text
	.p2align	2                               ; -- Begin function __ockl_fprintf_append_string_n
	.type	__ockl_fprintf_append_string_n,@function
__ockl_fprintf_append_string_n:         ; @__ockl_fprintf_append_string_n
; %bb.0:
	s_waitcnt vmcnt(0) expcnt(0) lgkmcnt(0)
	v_or_b32_e32 v2, 2, v0
	v_cmp_eq_u32_e32 vcc, 0, v6
	s_getpc_b64 s[4:5]
	s_add_u32 s4, s4, .str.3@rel32@lo+4
	s_addc_u32 s5, s5, .str.3@rel32@hi+12
	s_mov_b32 s20, 0
	v_cndmask_b32_e32 v36, v2, v0, vcc
	s_mov_b64 s[6:7], 0
	s_cmp_lg_u64 s[4:5], 0
	v_mbcnt_lo_u32_b32 v37, -1, 0
	s_cbranch_scc0 .LBB0_112
; %bb.1:
	s_load_dwordx2 s[10:11], s[8:9], 0x50
	s_getpc_b64 s[4:5]
	s_add_u32 s4, s4, .str.3@rel32@lo+4
	s_addc_u32 s5, s5, .str.3@rel32@hi+12
	v_and_b32_e32 v0, -3, v36
	v_mov_b32_e32 v31, s5
	v_mov_b32_e32 v11, v1
	v_and_b32_e32 v38, 2, v36
	v_mov_b32_e32 v3, 0
	v_mbcnt_hi_u32_b32 v39, -1, v37
	v_mov_b32_e32 v30, s4
	s_movk_i32 s21, 0x1e0
	v_mov_b32_e32 v8, 2
	v_mov_b32_e32 v9, 1
	;; [unrolled: 1-line block ×3, first 2 shown]
	s_branch .LBB0_3
.LBB0_2:                                ;   in Loop: Header=BB0_3 Depth=1
	s_or_b64 exec, exec, s[14:15]
	v_sub_co_u32_e32 v4, vcc, v4, v32
	v_subb_co_u32_e32 v5, vcc, v5, v33, vcc
	v_cmp_eq_u64_e32 vcc, 0, v[4:5]
	s_or_b64 s[6:7], vcc, s[6:7]
	v_add_co_u32_e32 v30, vcc, v30, v32
	v_addc_co_u32_e32 v31, vcc, v31, v33, vcc
	s_andn2_b64 exec, exec, s[6:7]
	s_cbranch_execz .LBB0_85
.LBB0_3:                                ; =>This Loop Header: Depth=1
                                        ;     Child Loop BB0_6 Depth 2
                                        ;     Child Loop BB0_14 Depth 2
	;; [unrolled: 1-line block ×11, first 2 shown]
	v_cmp_gt_u64_e32 vcc, 56, v[4:5]
	v_add_co_u32_e64 v16, s[4:5], 8, v30
	v_cndmask_b32_e32 v33, 0, v5, vcc
	v_cndmask_b32_e32 v32, 56, v4, vcc
	v_cmp_gt_u64_e32 vcc, 8, v[4:5]
	v_addc_co_u32_e64 v17, s[4:5], 0, v31, s[4:5]
	s_and_saveexec_b64 s[4:5], vcc
	s_xor_b64 s[4:5], exec, s[4:5]
	s_cbranch_execz .LBB0_9
; %bb.4:                                ;   in Loop: Header=BB0_3 Depth=1
	s_waitcnt vmcnt(0)
	v_mov_b32_e32 v12, 0
	v_cmp_ne_u64_e32 vcc, 0, v[4:5]
	v_mov_b32_e32 v13, 0
	s_and_saveexec_b64 s[12:13], vcc
	s_cbranch_execz .LBB0_8
; %bb.5:                                ;   in Loop: Header=BB0_3 Depth=1
	v_lshlrev_b64 v[6:7], 3, v[32:33]
	v_mov_b32_e32 v12, 0
	v_mov_b32_e32 v14, v30
	s_mov_b64 s[14:15], 0
	v_mov_b32_e32 v13, 0
	v_mov_b32_e32 v15, v31
	s_mov_b64 s[16:17], 0
.LBB0_6:                                ;   Parent Loop BB0_3 Depth=1
                                        ; =>  This Inner Loop Header: Depth=2
	global_load_ubyte v0, v[14:15], off
	v_mov_b32_e32 v17, s20
	v_add_co_u32_e32 v14, vcc, 1, v14
	v_addc_co_u32_e32 v15, vcc, 0, v15, vcc
	s_waitcnt vmcnt(0)
	v_and_b32_e32 v16, 0xffff, v0
	v_lshlrev_b64 v[16:17], s16, v[16:17]
	s_add_u32 s16, s16, 8
	s_addc_u32 s17, s17, 0
	v_cmp_eq_u32_e32 vcc, s16, v6
	v_or_b32_e32 v13, v17, v13
	s_or_b64 s[14:15], vcc, s[14:15]
	v_or_b32_e32 v12, v16, v12
	s_andn2_b64 exec, exec, s[14:15]
	s_cbranch_execnz .LBB0_6
; %bb.7:                                ;   in Loop: Header=BB0_3 Depth=1
	s_or_b64 exec, exec, s[14:15]
.LBB0_8:                                ;   in Loop: Header=BB0_3 Depth=1
	s_or_b64 exec, exec, s[12:13]
	v_mov_b32_e32 v16, v30
	v_mov_b32_e32 v17, v31
.LBB0_9:                                ;   in Loop: Header=BB0_3 Depth=1
	s_or_saveexec_b64 s[4:5], s[4:5]
	v_mov_b32_e32 v0, 0
	s_xor_b64 exec, exec, s[4:5]
	s_cbranch_execz .LBB0_11
; %bb.10:                               ;   in Loop: Header=BB0_3 Depth=1
	global_load_dwordx2 v[12:13], v[30:31], off
	v_add_u32_e32 v0, -8, v32
.LBB0_11:                               ;   in Loop: Header=BB0_3 Depth=1
	s_or_b64 exec, exec, s[4:5]
	v_add_co_u32_e64 v6, s[4:5], 8, v16
	v_cmp_gt_u32_e32 vcc, 8, v0
	v_addc_co_u32_e64 v7, s[4:5], 0, v17, s[4:5]
                                        ; implicit-def: $vgpr14_vgpr15
	s_and_saveexec_b64 s[4:5], vcc
	s_xor_b64 s[4:5], exec, s[4:5]
	s_cbranch_execz .LBB0_17
; %bb.12:                               ;   in Loop: Header=BB0_3 Depth=1
	v_mov_b32_e32 v14, 0
	v_mov_b32_e32 v15, 0
	v_cmp_ne_u32_e32 vcc, 0, v0
	s_and_saveexec_b64 s[12:13], vcc
	s_cbranch_execz .LBB0_16
; %bb.13:                               ;   in Loop: Header=BB0_3 Depth=1
	v_mov_b32_e32 v14, 0
	s_mov_b64 s[14:15], 0
	v_mov_b32_e32 v15, 0
	s_mov_b64 s[16:17], 0
	s_mov_b64 s[18:19], 0
.LBB0_14:                               ;   Parent Loop BB0_3 Depth=1
                                        ; =>  This Inner Loop Header: Depth=2
	v_mov_b32_e32 v2, s19
	v_add_co_u32_e32 v6, vcc, s18, v16
	v_addc_co_u32_e32 v7, vcc, v17, v2, vcc
	global_load_ubyte v2, v[6:7], off
	s_add_u32 s18, s18, 1
	v_mov_b32_e32 v7, s20
	s_addc_u32 s19, s19, 0
	v_cmp_eq_u32_e32 vcc, s18, v0
	s_waitcnt vmcnt(0)
	v_and_b32_e32 v6, 0xffff, v2
	v_lshlrev_b64 v[6:7], s16, v[6:7]
	s_add_u32 s16, s16, 8
	s_addc_u32 s17, s17, 0
	v_or_b32_e32 v15, v7, v15
	s_or_b64 s[14:15], vcc, s[14:15]
	v_or_b32_e32 v14, v6, v14
	s_andn2_b64 exec, exec, s[14:15]
	s_cbranch_execnz .LBB0_14
; %bb.15:                               ;   in Loop: Header=BB0_3 Depth=1
	s_or_b64 exec, exec, s[14:15]
.LBB0_16:                               ;   in Loop: Header=BB0_3 Depth=1
	s_or_b64 exec, exec, s[12:13]
	v_mov_b32_e32 v6, v16
	v_mov_b32_e32 v7, v17
                                        ; implicit-def: $vgpr0
.LBB0_17:                               ;   in Loop: Header=BB0_3 Depth=1
	s_or_saveexec_b64 s[4:5], s[4:5]
	v_mov_b32_e32 v2, 0
	s_xor_b64 exec, exec, s[4:5]
	s_cbranch_execz .LBB0_19
; %bb.18:                               ;   in Loop: Header=BB0_3 Depth=1
	global_load_dwordx2 v[14:15], v[16:17], off
	v_add_u32_e32 v2, -8, v0
.LBB0_19:                               ;   in Loop: Header=BB0_3 Depth=1
	s_or_b64 exec, exec, s[4:5]
	v_add_co_u32_e64 v20, s[4:5], 8, v6
	v_cmp_gt_u32_e32 vcc, 8, v2
	v_addc_co_u32_e64 v21, s[4:5], 0, v7, s[4:5]
	s_and_saveexec_b64 s[4:5], vcc
	s_xor_b64 s[4:5], exec, s[4:5]
	s_cbranch_execz .LBB0_25
; %bb.20:                               ;   in Loop: Header=BB0_3 Depth=1
	v_mov_b32_e32 v16, 0
	v_mov_b32_e32 v17, 0
	v_cmp_ne_u32_e32 vcc, 0, v2
	s_and_saveexec_b64 s[12:13], vcc
	s_cbranch_execz .LBB0_24
; %bb.21:                               ;   in Loop: Header=BB0_3 Depth=1
	v_mov_b32_e32 v16, 0
	s_mov_b64 s[14:15], 0
	v_mov_b32_e32 v17, 0
	s_mov_b64 s[16:17], 0
	s_mov_b64 s[18:19], 0
.LBB0_22:                               ;   Parent Loop BB0_3 Depth=1
                                        ; =>  This Inner Loop Header: Depth=2
	v_mov_b32_e32 v0, s19
	v_add_co_u32_e32 v18, vcc, s18, v6
	v_addc_co_u32_e32 v19, vcc, v7, v0, vcc
	global_load_ubyte v0, v[18:19], off
	s_add_u32 s18, s18, 1
	v_mov_b32_e32 v19, s20
	s_addc_u32 s19, s19, 0
	v_cmp_eq_u32_e32 vcc, s18, v2
	s_waitcnt vmcnt(0)
	v_and_b32_e32 v18, 0xffff, v0
	v_lshlrev_b64 v[18:19], s16, v[18:19]
	s_add_u32 s16, s16, 8
	s_addc_u32 s17, s17, 0
	v_or_b32_e32 v17, v19, v17
	s_or_b64 s[14:15], vcc, s[14:15]
	v_or_b32_e32 v16, v18, v16
	s_andn2_b64 exec, exec, s[14:15]
	s_cbranch_execnz .LBB0_22
; %bb.23:                               ;   in Loop: Header=BB0_3 Depth=1
	s_or_b64 exec, exec, s[14:15]
.LBB0_24:                               ;   in Loop: Header=BB0_3 Depth=1
	s_or_b64 exec, exec, s[12:13]
	v_mov_b32_e32 v21, v7
	v_mov_b32_e32 v20, v6
                                        ; implicit-def: $vgpr2
.LBB0_25:                               ;   in Loop: Header=BB0_3 Depth=1
	s_or_saveexec_b64 s[4:5], s[4:5]
	v_mov_b32_e32 v0, 0
	s_xor_b64 exec, exec, s[4:5]
	s_cbranch_execz .LBB0_27
; %bb.26:                               ;   in Loop: Header=BB0_3 Depth=1
	global_load_dwordx2 v[16:17], v[6:7], off
	v_add_u32_e32 v0, -8, v2
.LBB0_27:                               ;   in Loop: Header=BB0_3 Depth=1
	s_or_b64 exec, exec, s[4:5]
	v_add_co_u32_e64 v6, s[4:5], 8, v20
	v_cmp_gt_u32_e32 vcc, 8, v0
	v_addc_co_u32_e64 v7, s[4:5], 0, v21, s[4:5]
                                        ; implicit-def: $vgpr18_vgpr19
	s_and_saveexec_b64 s[4:5], vcc
	s_xor_b64 s[4:5], exec, s[4:5]
	s_cbranch_execz .LBB0_33
; %bb.28:                               ;   in Loop: Header=BB0_3 Depth=1
	v_mov_b32_e32 v18, 0
	v_mov_b32_e32 v19, 0
	v_cmp_ne_u32_e32 vcc, 0, v0
	s_and_saveexec_b64 s[12:13], vcc
	s_cbranch_execz .LBB0_32
; %bb.29:                               ;   in Loop: Header=BB0_3 Depth=1
	v_mov_b32_e32 v18, 0
	s_mov_b64 s[14:15], 0
	v_mov_b32_e32 v19, 0
	s_mov_b64 s[16:17], 0
	s_mov_b64 s[18:19], 0
.LBB0_30:                               ;   Parent Loop BB0_3 Depth=1
                                        ; =>  This Inner Loop Header: Depth=2
	v_mov_b32_e32 v2, s19
	v_add_co_u32_e32 v6, vcc, s18, v20
	v_addc_co_u32_e32 v7, vcc, v21, v2, vcc
	global_load_ubyte v2, v[6:7], off
	s_add_u32 s18, s18, 1
	v_mov_b32_e32 v7, s20
	s_addc_u32 s19, s19, 0
	v_cmp_eq_u32_e32 vcc, s18, v0
	s_waitcnt vmcnt(0)
	v_and_b32_e32 v6, 0xffff, v2
	v_lshlrev_b64 v[6:7], s16, v[6:7]
	s_add_u32 s16, s16, 8
	s_addc_u32 s17, s17, 0
	v_or_b32_e32 v19, v7, v19
	s_or_b64 s[14:15], vcc, s[14:15]
	v_or_b32_e32 v18, v6, v18
	s_andn2_b64 exec, exec, s[14:15]
	s_cbranch_execnz .LBB0_30
; %bb.31:                               ;   in Loop: Header=BB0_3 Depth=1
	s_or_b64 exec, exec, s[14:15]
.LBB0_32:                               ;   in Loop: Header=BB0_3 Depth=1
	s_or_b64 exec, exec, s[12:13]
	v_mov_b32_e32 v6, v20
	v_mov_b32_e32 v7, v21
                                        ; implicit-def: $vgpr0
.LBB0_33:                               ;   in Loop: Header=BB0_3 Depth=1
	s_or_saveexec_b64 s[4:5], s[4:5]
	v_mov_b32_e32 v2, 0
	s_xor_b64 exec, exec, s[4:5]
	s_cbranch_execz .LBB0_35
; %bb.34:                               ;   in Loop: Header=BB0_3 Depth=1
	global_load_dwordx2 v[18:19], v[20:21], off
	v_add_u32_e32 v2, -8, v0
.LBB0_35:                               ;   in Loop: Header=BB0_3 Depth=1
	s_or_b64 exec, exec, s[4:5]
	v_add_co_u32_e64 v24, s[4:5], 8, v6
	v_cmp_gt_u32_e32 vcc, 8, v2
	v_addc_co_u32_e64 v25, s[4:5], 0, v7, s[4:5]
	s_and_saveexec_b64 s[4:5], vcc
	s_xor_b64 s[4:5], exec, s[4:5]
	s_cbranch_execz .LBB0_41
; %bb.36:                               ;   in Loop: Header=BB0_3 Depth=1
	v_mov_b32_e32 v20, 0
	v_mov_b32_e32 v21, 0
	v_cmp_ne_u32_e32 vcc, 0, v2
	s_and_saveexec_b64 s[12:13], vcc
	s_cbranch_execz .LBB0_40
; %bb.37:                               ;   in Loop: Header=BB0_3 Depth=1
	v_mov_b32_e32 v20, 0
	s_mov_b64 s[14:15], 0
	v_mov_b32_e32 v21, 0
	s_mov_b64 s[16:17], 0
	s_mov_b64 s[18:19], 0
.LBB0_38:                               ;   Parent Loop BB0_3 Depth=1
                                        ; =>  This Inner Loop Header: Depth=2
	v_mov_b32_e32 v0, s19
	v_add_co_u32_e32 v22, vcc, s18, v6
	v_addc_co_u32_e32 v23, vcc, v7, v0, vcc
	global_load_ubyte v0, v[22:23], off
	s_add_u32 s18, s18, 1
	v_mov_b32_e32 v23, s20
	s_addc_u32 s19, s19, 0
	v_cmp_eq_u32_e32 vcc, s18, v2
	s_waitcnt vmcnt(0)
	v_and_b32_e32 v22, 0xffff, v0
	v_lshlrev_b64 v[22:23], s16, v[22:23]
	s_add_u32 s16, s16, 8
	s_addc_u32 s17, s17, 0
	v_or_b32_e32 v21, v23, v21
	s_or_b64 s[14:15], vcc, s[14:15]
	v_or_b32_e32 v20, v22, v20
	s_andn2_b64 exec, exec, s[14:15]
	s_cbranch_execnz .LBB0_38
; %bb.39:                               ;   in Loop: Header=BB0_3 Depth=1
	s_or_b64 exec, exec, s[14:15]
.LBB0_40:                               ;   in Loop: Header=BB0_3 Depth=1
	s_or_b64 exec, exec, s[12:13]
	v_mov_b32_e32 v25, v7
	v_mov_b32_e32 v24, v6
                                        ; implicit-def: $vgpr2
.LBB0_41:                               ;   in Loop: Header=BB0_3 Depth=1
	s_or_saveexec_b64 s[4:5], s[4:5]
	v_mov_b32_e32 v0, 0
	s_xor_b64 exec, exec, s[4:5]
	s_cbranch_execz .LBB0_43
; %bb.42:                               ;   in Loop: Header=BB0_3 Depth=1
	global_load_dwordx2 v[20:21], v[6:7], off
	v_add_u32_e32 v0, -8, v2
.LBB0_43:                               ;   in Loop: Header=BB0_3 Depth=1
	s_or_b64 exec, exec, s[4:5]
	v_add_co_u32_e64 v6, s[4:5], 8, v24
	v_cmp_gt_u32_e32 vcc, 8, v0
	v_addc_co_u32_e64 v7, s[4:5], 0, v25, s[4:5]
                                        ; implicit-def: $vgpr22_vgpr23
	s_and_saveexec_b64 s[4:5], vcc
	s_xor_b64 s[4:5], exec, s[4:5]
	s_cbranch_execz .LBB0_49
; %bb.44:                               ;   in Loop: Header=BB0_3 Depth=1
	v_mov_b32_e32 v22, 0
	v_mov_b32_e32 v23, 0
	v_cmp_ne_u32_e32 vcc, 0, v0
	s_and_saveexec_b64 s[12:13], vcc
	s_cbranch_execz .LBB0_48
; %bb.45:                               ;   in Loop: Header=BB0_3 Depth=1
	v_mov_b32_e32 v22, 0
	s_mov_b64 s[14:15], 0
	v_mov_b32_e32 v23, 0
	s_mov_b64 s[16:17], 0
	s_mov_b64 s[18:19], 0
.LBB0_46:                               ;   Parent Loop BB0_3 Depth=1
                                        ; =>  This Inner Loop Header: Depth=2
	v_mov_b32_e32 v2, s19
	v_add_co_u32_e32 v6, vcc, s18, v24
	v_addc_co_u32_e32 v7, vcc, v25, v2, vcc
	global_load_ubyte v2, v[6:7], off
	s_add_u32 s18, s18, 1
	v_mov_b32_e32 v7, s20
	s_addc_u32 s19, s19, 0
	v_cmp_eq_u32_e32 vcc, s18, v0
	s_waitcnt vmcnt(0)
	v_and_b32_e32 v6, 0xffff, v2
	v_lshlrev_b64 v[6:7], s16, v[6:7]
	s_add_u32 s16, s16, 8
	s_addc_u32 s17, s17, 0
	v_or_b32_e32 v23, v7, v23
	s_or_b64 s[14:15], vcc, s[14:15]
	v_or_b32_e32 v22, v6, v22
	s_andn2_b64 exec, exec, s[14:15]
	s_cbranch_execnz .LBB0_46
; %bb.47:                               ;   in Loop: Header=BB0_3 Depth=1
	s_or_b64 exec, exec, s[14:15]
.LBB0_48:                               ;   in Loop: Header=BB0_3 Depth=1
	s_or_b64 exec, exec, s[12:13]
	v_mov_b32_e32 v6, v24
	v_mov_b32_e32 v7, v25
                                        ; implicit-def: $vgpr0
.LBB0_49:                               ;   in Loop: Header=BB0_3 Depth=1
	s_or_saveexec_b64 s[4:5], s[4:5]
	v_mov_b32_e32 v2, 0
	s_xor_b64 exec, exec, s[4:5]
	s_cbranch_execz .LBB0_51
; %bb.50:                               ;   in Loop: Header=BB0_3 Depth=1
	global_load_dwordx2 v[22:23], v[24:25], off
	v_add_u32_e32 v2, -8, v0
.LBB0_51:                               ;   in Loop: Header=BB0_3 Depth=1
	s_or_b64 exec, exec, s[4:5]
	v_cmp_gt_u32_e32 vcc, 8, v2
	s_and_saveexec_b64 s[4:5], vcc
	s_xor_b64 s[4:5], exec, s[4:5]
	s_cbranch_execz .LBB0_57
; %bb.52:                               ;   in Loop: Header=BB0_3 Depth=1
	v_mov_b32_e32 v24, 0
	v_mov_b32_e32 v25, 0
	v_cmp_ne_u32_e32 vcc, 0, v2
	s_and_saveexec_b64 s[12:13], vcc
	s_cbranch_execz .LBB0_56
; %bb.53:                               ;   in Loop: Header=BB0_3 Depth=1
	v_mov_b32_e32 v24, 0
	s_mov_b64 s[14:15], 0
	v_mov_b32_e32 v25, 0
	s_mov_b64 s[16:17], 0
.LBB0_54:                               ;   Parent Loop BB0_3 Depth=1
                                        ; =>  This Inner Loop Header: Depth=2
	global_load_ubyte v0, v[6:7], off
	v_mov_b32_e32 v27, s20
	v_add_co_u32_e32 v6, vcc, 1, v6
	v_add_u32_e32 v2, -1, v2
	v_addc_co_u32_e32 v7, vcc, 0, v7, vcc
	v_cmp_eq_u32_e32 vcc, 0, v2
	s_waitcnt vmcnt(0)
	v_and_b32_e32 v26, 0xffff, v0
	v_lshlrev_b64 v[26:27], s16, v[26:27]
	s_add_u32 s16, s16, 8
	s_addc_u32 s17, s17, 0
	v_or_b32_e32 v25, v27, v25
	s_or_b64 s[14:15], vcc, s[14:15]
	v_or_b32_e32 v24, v26, v24
	s_andn2_b64 exec, exec, s[14:15]
	s_cbranch_execnz .LBB0_54
; %bb.55:                               ;   in Loop: Header=BB0_3 Depth=1
	s_or_b64 exec, exec, s[14:15]
.LBB0_56:                               ;   in Loop: Header=BB0_3 Depth=1
	s_or_b64 exec, exec, s[12:13]
                                        ; implicit-def: $vgpr6_vgpr7
.LBB0_57:                               ;   in Loop: Header=BB0_3 Depth=1
	s_andn2_saveexec_b64 s[4:5], s[4:5]
	s_cbranch_execz .LBB0_59
; %bb.58:                               ;   in Loop: Header=BB0_3 Depth=1
	global_load_dwordx2 v[24:25], v[6:7], off
.LBB0_59:                               ;   in Loop: Header=BB0_3 Depth=1
	s_or_b64 exec, exec, s[4:5]
	v_readfirstlane_b32 s4, v39
	v_mov_b32_e32 v6, 0
	v_mov_b32_e32 v7, 0
	v_cmp_eq_u32_e64 s[4:5], s4, v39
	s_and_saveexec_b64 s[12:13], s[4:5]
	s_cbranch_execz .LBB0_65
; %bb.60:                               ;   in Loop: Header=BB0_3 Depth=1
	s_waitcnt lgkmcnt(0)
	global_load_dwordx2 v[28:29], v3, s[10:11] offset:24 glc
	s_waitcnt vmcnt(0)
	buffer_wbinvl1_vol
	global_load_dwordx2 v[6:7], v3, s[10:11] offset:40
	global_load_dwordx2 v[26:27], v3, s[10:11]
	s_waitcnt vmcnt(1)
	v_and_b32_e32 v0, v6, v28
	v_and_b32_e32 v2, v7, v29
	v_mul_lo_u32 v2, v2, 24
	v_mul_hi_u32 v6, v0, 24
	v_mul_lo_u32 v0, v0, 24
	v_add_u32_e32 v2, v6, v2
	s_waitcnt vmcnt(0)
	v_add_co_u32_e32 v6, vcc, v26, v0
	v_addc_co_u32_e32 v7, vcc, v27, v2, vcc
	global_load_dwordx2 v[26:27], v[6:7], off glc
	s_waitcnt vmcnt(0)
	global_atomic_cmpswap_x2 v[6:7], v3, v[26:29], s[10:11] offset:24 glc
	s_waitcnt vmcnt(0)
	buffer_wbinvl1_vol
	v_cmp_ne_u64_e32 vcc, v[6:7], v[28:29]
	s_and_saveexec_b64 s[14:15], vcc
	s_cbranch_execz .LBB0_64
; %bb.61:                               ;   in Loop: Header=BB0_3 Depth=1
	s_mov_b64 s[16:17], 0
.LBB0_62:                               ;   Parent Loop BB0_3 Depth=1
                                        ; =>  This Inner Loop Header: Depth=2
	s_sleep 1
	global_load_dwordx2 v[26:27], v3, s[10:11] offset:40
	global_load_dwordx2 v[34:35], v3, s[10:11]
	v_mov_b32_e32 v29, v7
	v_mov_b32_e32 v28, v6
	s_waitcnt vmcnt(1)
	v_and_b32_e32 v0, v26, v28
	s_waitcnt vmcnt(0)
	v_mad_u64_u32 v[6:7], s[18:19], v0, 24, v[34:35]
	v_and_b32_e32 v2, v27, v29
	v_mov_b32_e32 v0, v7
	v_mad_u64_u32 v[26:27], s[18:19], v2, 24, v[0:1]
	v_mov_b32_e32 v7, v26
	global_load_dwordx2 v[26:27], v[6:7], off glc
	s_waitcnt vmcnt(0)
	global_atomic_cmpswap_x2 v[6:7], v3, v[26:29], s[10:11] offset:24 glc
	s_waitcnt vmcnt(0)
	buffer_wbinvl1_vol
	v_cmp_eq_u64_e32 vcc, v[6:7], v[28:29]
	s_or_b64 s[16:17], vcc, s[16:17]
	s_andn2_b64 exec, exec, s[16:17]
	s_cbranch_execnz .LBB0_62
; %bb.63:                               ;   in Loop: Header=BB0_3 Depth=1
	s_or_b64 exec, exec, s[16:17]
.LBB0_64:                               ;   in Loop: Header=BB0_3 Depth=1
	s_or_b64 exec, exec, s[14:15]
.LBB0_65:                               ;   in Loop: Header=BB0_3 Depth=1
	s_or_b64 exec, exec, s[12:13]
	s_waitcnt lgkmcnt(0)
	global_load_dwordx2 v[34:35], v3, s[10:11] offset:40
	global_load_dwordx4 v[26:29], v3, s[10:11]
	v_readfirstlane_b32 s13, v7
	v_readfirstlane_b32 s12, v6
	s_mov_b64 s[14:15], exec
	s_waitcnt vmcnt(1)
	v_readfirstlane_b32 s16, v34
	v_readfirstlane_b32 s17, v35
	s_and_b64 s[16:17], s[16:17], s[12:13]
	s_mul_i32 s18, s17, 24
	s_mul_hi_u32 s19, s16, 24
	s_mul_i32 s22, s16, 24
	s_add_i32 s18, s19, s18
	v_mov_b32_e32 v0, s18
	s_waitcnt vmcnt(0)
	v_add_co_u32_e32 v34, vcc, s22, v26
	v_addc_co_u32_e32 v35, vcc, v27, v0, vcc
	s_and_saveexec_b64 s[18:19], s[4:5]
	s_cbranch_execz .LBB0_67
; %bb.66:                               ;   in Loop: Header=BB0_3 Depth=1
	v_mov_b32_e32 v6, s14
	v_mov_b32_e32 v7, s15
	global_store_dwordx4 v[34:35], v[6:9], off offset:8
.LBB0_67:                               ;   in Loop: Header=BB0_3 Depth=1
	s_or_b64 exec, exec, s[18:19]
	s_lshl_b64 s[14:15], s[16:17], 12
	v_mov_b32_e32 v2, s15
	v_add_co_u32_e32 v0, vcc, s14, v28
	v_addc_co_u32_e32 v28, vcc, v29, v2, vcc
	v_cmp_gt_u64_e32 vcc, 57, v[4:5]
	v_and_b32_e32 v7, 0xffffff1f, v10
	v_cndmask_b32_e32 v2, 0, v38, vcc
	v_lshl_add_u32 v6, v32, 2, 28
	v_or_b32_e32 v2, v7, v2
	v_and_or_b32 v10, v6, s21, v2
	v_lshlrev_b32_e32 v29, 6, v39
	v_readfirstlane_b32 s14, v0
	v_readfirstlane_b32 s15, v28
	s_nop 4
	global_store_dwordx4 v29, v[10:13], s[14:15]
	global_store_dwordx4 v29, v[14:17], s[14:15] offset:16
	global_store_dwordx4 v29, v[18:21], s[14:15] offset:32
	;; [unrolled: 1-line block ×3, first 2 shown]
	s_and_saveexec_b64 s[14:15], s[4:5]
	s_cbranch_execz .LBB0_75
; %bb.68:                               ;   in Loop: Header=BB0_3 Depth=1
	global_load_dwordx2 v[14:15], v3, s[10:11] offset:32 glc
	global_load_dwordx2 v[6:7], v3, s[10:11] offset:40
	v_mov_b32_e32 v12, s12
	v_mov_b32_e32 v13, s13
	s_waitcnt vmcnt(0)
	v_readfirstlane_b32 s16, v6
	v_readfirstlane_b32 s17, v7
	s_and_b64 s[16:17], s[16:17], s[12:13]
	s_mul_i32 s17, s17, 24
	s_mul_hi_u32 s18, s16, 24
	s_mul_i32 s16, s16, 24
	s_add_i32 s17, s18, s17
	v_mov_b32_e32 v2, s17
	v_add_co_u32_e32 v6, vcc, s16, v26
	v_addc_co_u32_e32 v7, vcc, v27, v2, vcc
	global_store_dwordx2 v[6:7], v[14:15], off
	s_waitcnt vmcnt(0)
	global_atomic_cmpswap_x2 v[12:13], v3, v[12:15], s[10:11] offset:32 glc
	s_waitcnt vmcnt(0)
	v_cmp_ne_u64_e32 vcc, v[12:13], v[14:15]
	s_and_saveexec_b64 s[16:17], vcc
	s_cbranch_execz .LBB0_71
; %bb.69:                               ;   in Loop: Header=BB0_3 Depth=1
	s_mov_b64 s[18:19], 0
.LBB0_70:                               ;   Parent Loop BB0_3 Depth=1
                                        ; =>  This Inner Loop Header: Depth=2
	s_sleep 1
	global_store_dwordx2 v[6:7], v[12:13], off
	v_mov_b32_e32 v10, s12
	v_mov_b32_e32 v11, s13
	s_waitcnt vmcnt(0)
	global_atomic_cmpswap_x2 v[10:11], v3, v[10:13], s[10:11] offset:32 glc
	s_waitcnt vmcnt(0)
	v_cmp_eq_u64_e32 vcc, v[10:11], v[12:13]
	v_mov_b32_e32 v13, v11
	s_or_b64 s[18:19], vcc, s[18:19]
	v_mov_b32_e32 v12, v10
	s_andn2_b64 exec, exec, s[18:19]
	s_cbranch_execnz .LBB0_70
.LBB0_71:                               ;   in Loop: Header=BB0_3 Depth=1
	s_or_b64 exec, exec, s[16:17]
	global_load_dwordx2 v[6:7], v3, s[10:11] offset:16
	s_mov_b64 s[18:19], exec
	v_mbcnt_lo_u32_b32 v2, s18, 0
	v_mbcnt_hi_u32_b32 v2, s19, v2
	v_cmp_eq_u32_e32 vcc, 0, v2
	s_and_saveexec_b64 s[16:17], vcc
	s_cbranch_execz .LBB0_73
; %bb.72:                               ;   in Loop: Header=BB0_3 Depth=1
	s_bcnt1_i32_b64 s18, s[18:19]
	v_mov_b32_e32 v2, s18
	s_waitcnt vmcnt(0)
	global_atomic_add_x2 v[6:7], v[2:3], off offset:8
.LBB0_73:                               ;   in Loop: Header=BB0_3 Depth=1
	s_or_b64 exec, exec, s[16:17]
	s_waitcnt vmcnt(0)
	global_load_dwordx2 v[10:11], v[6:7], off offset:16
	s_waitcnt vmcnt(0)
	v_cmp_eq_u64_e32 vcc, 0, v[10:11]
	s_cbranch_vccnz .LBB0_75
; %bb.74:                               ;   in Loop: Header=BB0_3 Depth=1
	global_load_dword v2, v[6:7], off offset:24
	s_waitcnt vmcnt(0)
	v_readfirstlane_b32 s16, v2
	s_and_b32 m0, s16, 0xffffff
	global_store_dwordx2 v[10:11], v[2:3], off
	s_sendmsg sendmsg(MSG_INTERRUPT)
.LBB0_75:                               ;   in Loop: Header=BB0_3 Depth=1
	s_or_b64 exec, exec, s[14:15]
	v_add_co_u32_e32 v6, vcc, v0, v29
	v_addc_co_u32_e32 v7, vcc, 0, v28, vcc
	s_branch .LBB0_79
.LBB0_76:                               ;   in Loop: Header=BB0_79 Depth=2
	s_or_b64 exec, exec, s[14:15]
	v_readfirstlane_b32 s14, v0
	s_cmp_eq_u32 s14, 0
	s_cbranch_scc1 .LBB0_78
; %bb.77:                               ;   in Loop: Header=BB0_79 Depth=2
	s_sleep 1
	s_cbranch_execnz .LBB0_79
	s_branch .LBB0_81
.LBB0_78:                               ;   in Loop: Header=BB0_3 Depth=1
	s_branch .LBB0_81
.LBB0_79:                               ;   Parent Loop BB0_3 Depth=1
                                        ; =>  This Inner Loop Header: Depth=2
	v_mov_b32_e32 v0, 1
	s_and_saveexec_b64 s[14:15], s[4:5]
	s_cbranch_execz .LBB0_76
; %bb.80:                               ;   in Loop: Header=BB0_79 Depth=2
	global_load_dword v0, v[34:35], off offset:20 glc
	s_waitcnt vmcnt(0)
	buffer_wbinvl1_vol
	v_and_b32_e32 v0, 1, v0
	s_branch .LBB0_76
.LBB0_81:                               ;   in Loop: Header=BB0_3 Depth=1
	global_load_dwordx4 v[10:13], v[6:7], off
	s_and_saveexec_b64 s[14:15], s[4:5]
	s_cbranch_execz .LBB0_2
; %bb.82:                               ;   in Loop: Header=BB0_3 Depth=1
	global_load_dwordx2 v[6:7], v3, s[10:11] offset:40
	global_load_dwordx2 v[16:17], v3, s[10:11] offset:24 glc
	global_load_dwordx2 v[12:13], v3, s[10:11]
	s_waitcnt vmcnt(2)
	v_readfirstlane_b32 s16, v6
	v_readfirstlane_b32 s17, v7
	s_add_u32 s18, s16, 1
	s_addc_u32 s19, s17, 0
	s_add_u32 s4, s18, s12
	s_addc_u32 s5, s19, s13
	s_cmp_eq_u64 s[4:5], 0
	s_cselect_b32 s5, s19, s5
	s_cselect_b32 s4, s18, s4
	s_and_b64 s[12:13], s[4:5], s[16:17]
	s_mul_i32 s13, s13, 24
	s_mul_hi_u32 s16, s12, 24
	s_mul_i32 s12, s12, 24
	s_add_i32 s13, s16, s13
	v_mov_b32_e32 v0, s13
	s_waitcnt vmcnt(0)
	v_add_co_u32_e32 v6, vcc, s12, v12
	v_addc_co_u32_e32 v7, vcc, v13, v0, vcc
	v_mov_b32_e32 v14, s4
	global_store_dwordx2 v[6:7], v[16:17], off
	v_mov_b32_e32 v15, s5
	s_waitcnt vmcnt(0)
	global_atomic_cmpswap_x2 v[14:15], v3, v[14:17], s[10:11] offset:24 glc
	s_waitcnt vmcnt(0)
	v_cmp_ne_u64_e32 vcc, v[14:15], v[16:17]
	s_and_b64 exec, exec, vcc
	s_cbranch_execz .LBB0_2
; %bb.83:                               ;   in Loop: Header=BB0_3 Depth=1
	s_mov_b64 s[12:13], 0
.LBB0_84:                               ;   Parent Loop BB0_3 Depth=1
                                        ; =>  This Inner Loop Header: Depth=2
	s_sleep 1
	global_store_dwordx2 v[6:7], v[14:15], off
	v_mov_b32_e32 v12, s4
	v_mov_b32_e32 v13, s5
	s_waitcnt vmcnt(0)
	global_atomic_cmpswap_x2 v[12:13], v3, v[12:15], s[10:11] offset:24 glc
	s_waitcnt vmcnt(0)
	v_cmp_eq_u64_e32 vcc, v[12:13], v[14:15]
	v_mov_b32_e32 v15, v13
	s_or_b64 s[12:13], vcc, s[12:13]
	v_mov_b32_e32 v14, v12
	s_andn2_b64 exec, exec, s[12:13]
	s_cbranch_execnz .LBB0_84
	s_branch .LBB0_2
.LBB0_85:
	s_or_b64 exec, exec, s[6:7]
	s_branch .LBB0_113
.LBB0_86:
	s_load_dwordx2 s[6:7], s[8:9], 0x50
	v_mbcnt_hi_u32_b32 v3, -1, v37
	v_readfirstlane_b32 s4, v3
	v_mov_b32_e32 v8, 0
	v_mov_b32_e32 v9, 0
	v_cmp_eq_u32_e64 s[4:5], s4, v3
	s_and_saveexec_b64 s[8:9], s[4:5]
	s_cbranch_execz .LBB0_92
; %bb.87:
	v_mov_b32_e32 v0, 0
	s_waitcnt lgkmcnt(0)
	global_load_dwordx2 v[6:7], v0, s[6:7] offset:24 glc
	s_waitcnt vmcnt(0)
	buffer_wbinvl1_vol
	global_load_dwordx2 v[4:5], v0, s[6:7] offset:40
	global_load_dwordx2 v[8:9], v0, s[6:7]
	s_waitcnt vmcnt(1)
	v_and_b32_e32 v2, v4, v6
	v_and_b32_e32 v4, v5, v7
	v_mul_lo_u32 v4, v4, 24
	v_mul_hi_u32 v5, v2, 24
	v_mul_lo_u32 v2, v2, 24
	v_add_u32_e32 v5, v5, v4
	s_waitcnt vmcnt(0)
	v_add_co_u32_e32 v4, vcc, v8, v2
	v_addc_co_u32_e32 v5, vcc, v9, v5, vcc
	global_load_dwordx2 v[4:5], v[4:5], off glc
	s_waitcnt vmcnt(0)
	global_atomic_cmpswap_x2 v[8:9], v0, v[4:7], s[6:7] offset:24 glc
	s_waitcnt vmcnt(0)
	buffer_wbinvl1_vol
	v_cmp_ne_u64_e32 vcc, v[8:9], v[6:7]
	s_and_saveexec_b64 s[10:11], vcc
	s_cbranch_execz .LBB0_91
; %bb.88:
	s_mov_b64 s[12:13], 0
.LBB0_89:                               ; =>This Inner Loop Header: Depth=1
	s_sleep 1
	global_load_dwordx2 v[4:5], v0, s[6:7] offset:40
	global_load_dwordx2 v[10:11], v0, s[6:7]
	v_mov_b32_e32 v6, v8
	v_mov_b32_e32 v7, v9
	s_waitcnt vmcnt(1)
	v_and_b32_e32 v2, v4, v6
	s_waitcnt vmcnt(0)
	v_mad_u64_u32 v[8:9], s[14:15], v2, 24, v[10:11]
	v_and_b32_e32 v4, v5, v7
	v_mov_b32_e32 v2, v9
	v_mad_u64_u32 v[4:5], s[14:15], v4, 24, v[2:3]
	v_mov_b32_e32 v9, v4
	global_load_dwordx2 v[4:5], v[8:9], off glc
	s_waitcnt vmcnt(0)
	global_atomic_cmpswap_x2 v[8:9], v0, v[4:7], s[6:7] offset:24 glc
	s_waitcnt vmcnt(0)
	buffer_wbinvl1_vol
	v_cmp_eq_u64_e32 vcc, v[8:9], v[6:7]
	s_or_b64 s[12:13], vcc, s[12:13]
	s_andn2_b64 exec, exec, s[12:13]
	s_cbranch_execnz .LBB0_89
; %bb.90:
	s_or_b64 exec, exec, s[12:13]
.LBB0_91:
	s_or_b64 exec, exec, s[10:11]
.LBB0_92:
	s_or_b64 exec, exec, s[8:9]
	v_mov_b32_e32 v2, 0
	s_waitcnt lgkmcnt(0)
	global_load_dwordx2 v[10:11], v2, s[6:7] offset:40
	global_load_dwordx4 v[4:7], v2, s[6:7]
	v_readfirstlane_b32 s9, v9
	v_readfirstlane_b32 s8, v8
	s_mov_b64 s[10:11], exec
	s_waitcnt vmcnt(1)
	v_readfirstlane_b32 s12, v10
	v_readfirstlane_b32 s13, v11
	s_and_b64 s[12:13], s[12:13], s[8:9]
	s_mul_i32 s14, s13, 24
	s_mul_hi_u32 s15, s12, 24
	s_mul_i32 s16, s12, 24
	s_add_i32 s14, s15, s14
	v_mov_b32_e32 v0, s14
	s_waitcnt vmcnt(0)
	v_add_co_u32_e32 v8, vcc, s16, v4
	v_addc_co_u32_e32 v9, vcc, v5, v0, vcc
	s_and_saveexec_b64 s[14:15], s[4:5]
	s_cbranch_execz .LBB0_94
; %bb.93:
	v_mov_b32_e32 v10, s10
	v_mov_b32_e32 v11, s11
	;; [unrolled: 1-line block ×4, first 2 shown]
	global_store_dwordx4 v[8:9], v[10:13], off offset:8
.LBB0_94:
	s_or_b64 exec, exec, s[14:15]
	s_lshl_b64 s[10:11], s[12:13], 12
	v_mov_b32_e32 v0, s11
	v_add_co_u32_e32 v6, vcc, s10, v6
	v_addc_co_u32_e32 v7, vcc, v7, v0, vcc
	s_movk_i32 s10, 0xff1f
	v_and_or_b32 v0, v36, s10, 32
	v_lshlrev_b32_e32 v10, 6, v3
	s_mov_b32 s12, 0
	v_mov_b32_e32 v3, v2
	v_readfirstlane_b32 s10, v6
	v_readfirstlane_b32 s11, v7
	s_mov_b32 s13, s12
	s_mov_b32 s14, s12
	;; [unrolled: 1-line block ×3, first 2 shown]
	s_nop 1
	global_store_dwordx4 v10, v[0:3], s[10:11]
	s_nop 0
	v_mov_b32_e32 v0, s12
	v_mov_b32_e32 v1, s13
	;; [unrolled: 1-line block ×4, first 2 shown]
	global_store_dwordx4 v10, v[0:3], s[10:11] offset:16
	global_store_dwordx4 v10, v[0:3], s[10:11] offset:32
	;; [unrolled: 1-line block ×3, first 2 shown]
	s_and_saveexec_b64 s[10:11], s[4:5]
	s_cbranch_execz .LBB0_102
; %bb.95:
	v_mov_b32_e32 v6, 0
	global_load_dwordx2 v[12:13], v6, s[6:7] offset:32 glc
	global_load_dwordx2 v[0:1], v6, s[6:7] offset:40
	v_mov_b32_e32 v10, s8
	v_mov_b32_e32 v11, s9
	s_waitcnt vmcnt(0)
	v_and_b32_e32 v0, s8, v0
	v_and_b32_e32 v1, s9, v1
	v_mul_lo_u32 v1, v1, 24
	v_mul_hi_u32 v2, v0, 24
	v_mul_lo_u32 v0, v0, 24
	v_add_u32_e32 v1, v2, v1
	v_add_co_u32_e32 v4, vcc, v4, v0
	v_addc_co_u32_e32 v5, vcc, v5, v1, vcc
	global_store_dwordx2 v[4:5], v[12:13], off
	s_waitcnt vmcnt(0)
	global_atomic_cmpswap_x2 v[2:3], v6, v[10:13], s[6:7] offset:32 glc
	s_waitcnt vmcnt(0)
	v_cmp_ne_u64_e32 vcc, v[2:3], v[12:13]
	s_and_saveexec_b64 s[12:13], vcc
	s_cbranch_execz .LBB0_98
; %bb.96:
	s_mov_b64 s[14:15], 0
.LBB0_97:                               ; =>This Inner Loop Header: Depth=1
	s_sleep 1
	global_store_dwordx2 v[4:5], v[2:3], off
	v_mov_b32_e32 v0, s8
	v_mov_b32_e32 v1, s9
	s_waitcnt vmcnt(0)
	global_atomic_cmpswap_x2 v[0:1], v6, v[0:3], s[6:7] offset:32 glc
	s_waitcnt vmcnt(0)
	v_cmp_eq_u64_e32 vcc, v[0:1], v[2:3]
	v_mov_b32_e32 v3, v1
	s_or_b64 s[14:15], vcc, s[14:15]
	v_mov_b32_e32 v2, v0
	s_andn2_b64 exec, exec, s[14:15]
	s_cbranch_execnz .LBB0_97
.LBB0_98:
	s_or_b64 exec, exec, s[12:13]
	v_mov_b32_e32 v3, 0
	global_load_dwordx2 v[0:1], v3, s[6:7] offset:16
	s_mov_b64 s[12:13], exec
	v_mbcnt_lo_u32_b32 v2, s12, 0
	v_mbcnt_hi_u32_b32 v2, s13, v2
	v_cmp_eq_u32_e32 vcc, 0, v2
	s_and_saveexec_b64 s[14:15], vcc
	s_cbranch_execz .LBB0_100
; %bb.99:
	s_bcnt1_i32_b64 s12, s[12:13]
	v_mov_b32_e32 v2, s12
	s_waitcnt vmcnt(0)
	global_atomic_add_x2 v[0:1], v[2:3], off offset:8
.LBB0_100:
	s_or_b64 exec, exec, s[14:15]
	s_waitcnt vmcnt(0)
	global_load_dwordx2 v[2:3], v[0:1], off offset:16
	s_waitcnt vmcnt(0)
	v_cmp_eq_u64_e32 vcc, 0, v[2:3]
	s_cbranch_vccnz .LBB0_102
; %bb.101:
	global_load_dword v0, v[0:1], off offset:24
	v_mov_b32_e32 v1, 0
	s_waitcnt vmcnt(0)
	v_readfirstlane_b32 s12, v0
	s_and_b32 m0, s12, 0xffffff
	global_store_dwordx2 v[2:3], v[0:1], off
	s_sendmsg sendmsg(MSG_INTERRUPT)
.LBB0_102:
	s_or_b64 exec, exec, s[10:11]
	s_branch .LBB0_106
.LBB0_103:                              ;   in Loop: Header=BB0_106 Depth=1
	s_or_b64 exec, exec, s[10:11]
	v_readfirstlane_b32 s10, v0
	s_cmp_eq_u32 s10, 0
	s_cbranch_scc1 .LBB0_105
; %bb.104:                              ;   in Loop: Header=BB0_106 Depth=1
	s_sleep 1
	s_cbranch_execnz .LBB0_106
	s_branch .LBB0_108
.LBB0_105:
	s_branch .LBB0_108
.LBB0_106:                              ; =>This Inner Loop Header: Depth=1
	v_mov_b32_e32 v0, 1
	s_and_saveexec_b64 s[10:11], s[4:5]
	s_cbranch_execz .LBB0_103
; %bb.107:                              ;   in Loop: Header=BB0_106 Depth=1
	global_load_dword v0, v[8:9], off offset:20 glc
	s_waitcnt vmcnt(0)
	buffer_wbinvl1_vol
	v_and_b32_e32 v0, 1, v0
	s_branch .LBB0_103
.LBB0_108:
	s_and_saveexec_b64 s[10:11], s[4:5]
	s_cbranch_execz .LBB0_111
; %bb.109:
	v_mov_b32_e32 v6, 0
	global_load_dwordx2 v[0:1], v6, s[6:7] offset:40
	global_load_dwordx2 v[9:10], v6, s[6:7] offset:24 glc
	global_load_dwordx2 v[2:3], v6, s[6:7]
	s_waitcnt vmcnt(2)
	v_readfirstlane_b32 s12, v0
	v_readfirstlane_b32 s13, v1
	s_add_u32 s14, s12, 1
	s_addc_u32 s15, s13, 0
	s_add_u32 s4, s14, s8
	s_addc_u32 s5, s15, s9
	s_cmp_eq_u64 s[4:5], 0
	s_cselect_b32 s5, s15, s5
	s_cselect_b32 s4, s14, s4
	s_and_b64 s[8:9], s[4:5], s[12:13]
	s_mul_i32 s9, s9, 24
	s_mul_hi_u32 s12, s8, 24
	s_mul_i32 s8, s8, 24
	s_add_i32 s9, s12, s9
	v_mov_b32_e32 v0, s9
	s_waitcnt vmcnt(0)
	v_add_co_u32_e32 v4, vcc, s8, v2
	v_addc_co_u32_e32 v5, vcc, v3, v0, vcc
	v_mov_b32_e32 v7, s4
	global_store_dwordx2 v[4:5], v[9:10], off
	v_mov_b32_e32 v8, s5
	s_waitcnt vmcnt(0)
	global_atomic_cmpswap_x2 v[2:3], v6, v[7:10], s[6:7] offset:24 glc
	s_mov_b64 s[8:9], 0
	s_waitcnt vmcnt(0)
	v_cmp_ne_u64_e32 vcc, v[2:3], v[9:10]
	s_and_b64 exec, exec, vcc
	s_cbranch_execz .LBB0_111
.LBB0_110:                              ; =>This Inner Loop Header: Depth=1
	s_sleep 1
	global_store_dwordx2 v[4:5], v[2:3], off
	v_mov_b32_e32 v0, s4
	v_mov_b32_e32 v1, s5
	s_waitcnt vmcnt(0)
	global_atomic_cmpswap_x2 v[0:1], v6, v[0:3], s[6:7] offset:24 glc
	s_waitcnt vmcnt(0)
	v_cmp_eq_u64_e32 vcc, v[0:1], v[2:3]
	v_mov_b32_e32 v3, v1
	s_or_b64 s[8:9], vcc, s[8:9]
	v_mov_b32_e32 v2, v0
	s_andn2_b64 exec, exec, s[8:9]
	s_cbranch_execnz .LBB0_110
.LBB0_111:
	s_or_b64 exec, exec, s[10:11]
	s_waitcnt vmcnt(0) lgkmcnt(0)
	s_setpc_b64 s[30:31]
.LBB0_112:
	s_cbranch_execnz .LBB0_86
.LBB0_113:
	s_waitcnt vmcnt(0) lgkmcnt(0)
	s_setpc_b64 s[30:31]
.Lfunc_end0:
	.size	__ockl_fprintf_append_string_n, .Lfunc_end0-__ockl_fprintf_append_string_n
                                        ; -- End function
	.set .L__ockl_fprintf_append_string_n.num_vgpr, 40
	.set .L__ockl_fprintf_append_string_n.num_agpr, 0
	.set .L__ockl_fprintf_append_string_n.numbered_sgpr, 32
	.set .L__ockl_fprintf_append_string_n.num_named_barrier, 0
	.set .L__ockl_fprintf_append_string_n.private_seg_size, 0
	.set .L__ockl_fprintf_append_string_n.uses_vcc, 1
	.set .L__ockl_fprintf_append_string_n.uses_flat_scratch, 0
	.set .L__ockl_fprintf_append_string_n.has_dyn_sized_stack, 0
	.set .L__ockl_fprintf_append_string_n.has_recursion, 0
	.set .L__ockl_fprintf_append_string_n.has_indirect_call, 0
	.section	.AMDGPU.csdata,"",@progbits
; Function info:
; codeLenInByte = 3900
; TotalNumSgprs: 36
; NumVgprs: 40
; ScratchSize: 0
; MemoryBound: 0
	.text
	.p2align	2                               ; -- Begin function __assert_fail
	.type	__assert_fail,@function
__assert_fail:                          ; @__assert_fail
; %bb.0:
	s_waitcnt vmcnt(0) expcnt(0) lgkmcnt(0)
	s_mov_b32 s25, s33
	s_mov_b32 s33, s32
	s_or_saveexec_b64 s[4:5], -1
	buffer_store_dword v40, off, s[0:3], s33 offset:48 ; 4-byte Folded Spill
	s_mov_b64 exec, s[4:5]
	v_writelane_b32 v40, s30, 0
	s_addk_i32 s32, 0x1000
	v_writelane_b32 v40, s31, 1
	v_mov_b32_e32 v8, 0
	s_getpc_b64 s[4:5]
	s_add_u32 s4, s4, __const.__assert_fail.fmt@rel32@lo+35
	s_addc_u32 s5, s5, __const.__assert_fail.fmt@rel32@hi+43
	v_mov_b32_e32 v5, v1
	v_mov_b32_e32 v4, v0
	global_load_dwordx4 v[0:3], v8, s[4:5]
	s_getpc_b64 s[16:17]
	s_add_u32 s16, s16, __const.__assert_fail.fmt@rel32@lo+4
	s_addc_u32 s17, s17, __const.__assert_fail.fmt@rel32@hi+12
	s_getpc_b64 s[18:19]
	s_add_u32 s18, s18, __const.__assert_fail.fmt@rel32@lo+20
	s_addc_u32 s19, s19, __const.__assert_fail.fmt@rel32@hi+28
	v_mbcnt_lo_u32_b32 v9, -1, 0
	s_load_dwordx4 s[4:7], s[16:17], 0x0
	s_load_dwordx4 s[12:15], s[18:19], 0x0
	s_load_dwordx2 s[10:11], s[8:9], 0x50
	v_mbcnt_hi_u32_b32 v34, -1, v9
	v_mov_b32_e32 v6, 0
	v_readfirstlane_b32 s16, v34
	v_mov_b32_e32 v7, 0
	s_waitcnt lgkmcnt(0)
	v_mov_b32_e32 v9, s7
	v_mov_b32_e32 v11, s5
	;; [unrolled: 1-line block ×3, first 2 shown]
	v_cmp_eq_u32_e64 s[4:5], s16, v34
	v_mov_b32_e32 v10, s6
	v_mov_b32_e32 v13, s15
	;; [unrolled: 1-line block ×5, first 2 shown]
	buffer_store_dword v9, off, s[0:3], s33 offset:12
	buffer_store_dword v10, off, s[0:3], s33 offset:8
	buffer_store_dword v11, off, s[0:3], s33 offset:4
	buffer_store_dword v12, off, s[0:3], s33
	buffer_store_dword v13, off, s[0:3], s33 offset:28
	buffer_store_dword v14, off, s[0:3], s33 offset:24
	;; [unrolled: 1-line block ×4, first 2 shown]
	s_waitcnt vmcnt(8)
	buffer_store_dword v3, off, s[0:3], s33 offset:43
	buffer_store_dword v2, off, s[0:3], s33 offset:39
	;; [unrolled: 1-line block ×4, first 2 shown]
	s_and_saveexec_b64 s[6:7], s[4:5]
	s_cbranch_execz .LBB1_6
; %bb.1:
	global_load_dwordx2 v[2:3], v8, s[10:11] offset:24 glc
	s_waitcnt vmcnt(0)
	buffer_wbinvl1_vol
	global_load_dwordx2 v[0:1], v8, s[10:11] offset:40
	global_load_dwordx2 v[6:7], v8, s[10:11]
	s_waitcnt vmcnt(1)
	v_and_b32_e32 v0, v0, v2
	v_and_b32_e32 v1, v1, v3
	v_mul_lo_u32 v1, v1, 24
	v_mul_hi_u32 v9, v0, 24
	v_mul_lo_u32 v0, v0, 24
	v_add_u32_e32 v1, v9, v1
	s_waitcnt vmcnt(0)
	v_add_co_u32_e32 v0, vcc, v6, v0
	v_addc_co_u32_e32 v1, vcc, v7, v1, vcc
	global_load_dwordx2 v[0:1], v[0:1], off glc
	s_waitcnt vmcnt(0)
	global_atomic_cmpswap_x2 v[6:7], v8, v[0:3], s[10:11] offset:24 glc
	s_waitcnt vmcnt(0)
	buffer_wbinvl1_vol
	v_cmp_ne_u64_e32 vcc, v[6:7], v[2:3]
	s_and_saveexec_b64 s[12:13], vcc
	s_cbranch_execz .LBB1_5
; %bb.2:
	s_mov_b64 s[14:15], 0
	v_mov_b32_e32 v0, 0
.LBB1_3:                                ; =>This Inner Loop Header: Depth=1
	s_sleep 1
	global_load_dwordx2 v[1:2], v0, s[10:11] offset:40
	global_load_dwordx2 v[9:10], v0, s[10:11]
	v_mov_b32_e32 v12, v7
	v_mov_b32_e32 v11, v6
	s_waitcnt vmcnt(1)
	v_and_b32_e32 v1, v1, v11
	s_waitcnt vmcnt(0)
	v_mad_u64_u32 v[6:7], s[16:17], v1, 24, v[9:10]
	v_and_b32_e32 v2, v2, v12
	v_mov_b32_e32 v1, v7
	v_mad_u64_u32 v[1:2], s[16:17], v2, 24, v[1:2]
	v_mov_b32_e32 v7, v1
	global_load_dwordx2 v[9:10], v[6:7], off glc
	s_waitcnt vmcnt(0)
	global_atomic_cmpswap_x2 v[6:7], v0, v[9:12], s[10:11] offset:24 glc
	s_waitcnt vmcnt(0)
	buffer_wbinvl1_vol
	v_cmp_eq_u64_e32 vcc, v[6:7], v[11:12]
	s_or_b64 s[14:15], vcc, s[14:15]
	s_andn2_b64 exec, exec, s[14:15]
	s_cbranch_execnz .LBB1_3
; %bb.4:
	s_or_b64 exec, exec, s[14:15]
.LBB1_5:
	s_or_b64 exec, exec, s[12:13]
.LBB1_6:
	s_or_b64 exec, exec, s[6:7]
	global_load_dwordx2 v[9:10], v8, s[10:11] offset:40
	global_load_dwordx4 v[0:3], v8, s[10:11]
	v_readfirstlane_b32 s7, v7
	v_readfirstlane_b32 s6, v6
	s_mov_b64 s[12:13], exec
	s_waitcnt vmcnt(1)
	v_readfirstlane_b32 s14, v9
	v_readfirstlane_b32 s15, v10
	s_and_b64 s[14:15], s[14:15], s[6:7]
	s_mul_i32 s16, s15, 24
	s_mul_hi_u32 s17, s14, 24
	s_mul_i32 s18, s14, 24
	s_add_i32 s16, s17, s16
	v_mov_b32_e32 v6, s16
	s_waitcnt vmcnt(0)
	v_add_co_u32_e32 v10, vcc, s18, v0
	v_addc_co_u32_e32 v11, vcc, v1, v6, vcc
	s_and_saveexec_b64 s[16:17], s[4:5]
	s_cbranch_execz .LBB1_8
; %bb.7:
	v_mov_b32_e32 v6, s12
	v_mov_b32_e32 v7, s13
	;; [unrolled: 1-line block ×4, first 2 shown]
	global_store_dwordx4 v[10:11], v[6:9], off offset:8
.LBB1_8:
	s_or_b64 exec, exec, s[16:17]
	s_lshl_b64 s[12:13], s[14:15], 12
	v_mov_b32_e32 v6, s13
	v_add_co_u32_e32 v2, vcc, s12, v2
	s_mov_b32 s12, 0
	v_addc_co_u32_e32 v3, vcc, v3, v6, vcc
	v_lshlrev_b32_e32 v35, 6, v34
	s_mov_b32 s15, s12
	v_mov_b32_e32 v7, 0
	v_add_co_u32_e32 v12, vcc, v2, v35
	s_mov_b32 s13, s12
	s_mov_b32 s14, s12
	v_mov_b32_e32 v17, s15
	v_addc_co_u32_e32 v13, vcc, 0, v3, vcc
	v_mov_b32_e32 v6, 33
	v_mov_b32_e32 v8, 1
	;; [unrolled: 1-line block ×3, first 2 shown]
	v_readfirstlane_b32 s16, v2
	v_readfirstlane_b32 s17, v3
	v_mov_b32_e32 v16, s14
	v_mov_b32_e32 v15, s13
	;; [unrolled: 1-line block ×3, first 2 shown]
	s_nop 1
	global_store_dwordx4 v35, v[6:9], s[16:17]
	global_store_dwordx4 v35, v[14:17], s[16:17] offset:16
	global_store_dwordx4 v35, v[14:17], s[16:17] offset:32
	;; [unrolled: 1-line block ×3, first 2 shown]
	s_and_saveexec_b64 s[12:13], s[4:5]
	s_cbranch_execz .LBB1_16
; %bb.9:
	global_load_dwordx2 v[16:17], v7, s[10:11] offset:32 glc
	global_load_dwordx2 v[2:3], v7, s[10:11] offset:40
	v_mov_b32_e32 v14, s6
	v_mov_b32_e32 v15, s7
	s_waitcnt vmcnt(0)
	v_and_b32_e32 v2, s6, v2
	v_and_b32_e32 v3, s7, v3
	v_mul_lo_u32 v3, v3, 24
	v_mul_hi_u32 v6, v2, 24
	v_mul_lo_u32 v2, v2, 24
	v_add_u32_e32 v3, v6, v3
	v_add_co_u32_e32 v8, vcc, v0, v2
	v_addc_co_u32_e32 v9, vcc, v1, v3, vcc
	global_store_dwordx2 v[8:9], v[16:17], off
	s_waitcnt vmcnt(0)
	global_atomic_cmpswap_x2 v[2:3], v7, v[14:17], s[10:11] offset:32 glc
	s_waitcnt vmcnt(0)
	v_cmp_ne_u64_e32 vcc, v[2:3], v[16:17]
	s_and_saveexec_b64 s[14:15], vcc
	s_cbranch_execz .LBB1_12
; %bb.10:
	s_mov_b64 s[16:17], 0
	v_mov_b32_e32 v6, 0
.LBB1_11:                               ; =>This Inner Loop Header: Depth=1
	s_sleep 1
	global_store_dwordx2 v[8:9], v[2:3], off
	v_mov_b32_e32 v0, s6
	v_mov_b32_e32 v1, s7
	s_waitcnt vmcnt(0)
	global_atomic_cmpswap_x2 v[0:1], v6, v[0:3], s[10:11] offset:32 glc
	s_waitcnt vmcnt(0)
	v_cmp_eq_u64_e32 vcc, v[0:1], v[2:3]
	v_mov_b32_e32 v3, v1
	s_or_b64 s[16:17], vcc, s[16:17]
	v_mov_b32_e32 v2, v0
	s_andn2_b64 exec, exec, s[16:17]
	s_cbranch_execnz .LBB1_11
.LBB1_12:
	s_or_b64 exec, exec, s[14:15]
	v_mov_b32_e32 v3, 0
	global_load_dwordx2 v[0:1], v3, s[10:11] offset:16
	s_mov_b64 s[14:15], exec
	v_mbcnt_lo_u32_b32 v2, s14, 0
	v_mbcnt_hi_u32_b32 v2, s15, v2
	v_cmp_eq_u32_e32 vcc, 0, v2
	s_and_saveexec_b64 s[16:17], vcc
	s_cbranch_execz .LBB1_14
; %bb.13:
	s_bcnt1_i32_b64 s14, s[14:15]
	v_mov_b32_e32 v2, s14
	s_waitcnt vmcnt(0)
	global_atomic_add_x2 v[0:1], v[2:3], off offset:8
.LBB1_14:
	s_or_b64 exec, exec, s[16:17]
	s_waitcnt vmcnt(0)
	global_load_dwordx2 v[2:3], v[0:1], off offset:16
	s_waitcnt vmcnt(0)
	v_cmp_eq_u64_e32 vcc, 0, v[2:3]
	s_cbranch_vccnz .LBB1_16
; %bb.15:
	global_load_dword v0, v[0:1], off offset:24
	v_mov_b32_e32 v1, 0
	s_waitcnt vmcnt(0)
	v_readfirstlane_b32 s14, v0
	s_and_b32 m0, s14, 0xffffff
	global_store_dwordx2 v[2:3], v[0:1], off
	s_sendmsg sendmsg(MSG_INTERRUPT)
.LBB1_16:
	s_or_b64 exec, exec, s[12:13]
	s_branch .LBB1_20
.LBB1_17:                               ;   in Loop: Header=BB1_20 Depth=1
	s_or_b64 exec, exec, s[12:13]
	v_readfirstlane_b32 s12, v0
	s_cmp_eq_u32 s12, 0
	s_cbranch_scc1 .LBB1_19
; %bb.18:                               ;   in Loop: Header=BB1_20 Depth=1
	s_sleep 1
	s_cbranch_execnz .LBB1_20
	s_branch .LBB1_22
.LBB1_19:
	s_branch .LBB1_22
.LBB1_20:                               ; =>This Inner Loop Header: Depth=1
	v_mov_b32_e32 v0, 1
	s_and_saveexec_b64 s[12:13], s[4:5]
	s_cbranch_execz .LBB1_17
; %bb.21:                               ;   in Loop: Header=BB1_20 Depth=1
	global_load_dword v0, v[10:11], off offset:20 glc
	s_waitcnt vmcnt(0)
	buffer_wbinvl1_vol
	v_and_b32_e32 v0, 1, v0
	s_branch .LBB1_17
.LBB1_22:
	global_load_dwordx2 v[6:7], v[12:13], off
	s_and_saveexec_b64 s[12:13], s[4:5]
	s_cbranch_execz .LBB1_25
; %bb.23:
	v_mov_b32_e32 v10, 0
	global_load_dwordx2 v[0:1], v10, s[10:11] offset:40
	global_load_dwordx2 v[13:14], v10, s[10:11] offset:24 glc
	global_load_dwordx2 v[2:3], v10, s[10:11]
	s_waitcnt vmcnt(2)
	v_readfirstlane_b32 s14, v0
	v_readfirstlane_b32 s15, v1
	s_add_u32 s16, s14, 1
	s_addc_u32 s17, s15, 0
	s_add_u32 s4, s16, s6
	s_addc_u32 s5, s17, s7
	s_cmp_eq_u64 s[4:5], 0
	s_cselect_b32 s5, s17, s5
	s_cselect_b32 s4, s16, s4
	s_and_b64 s[6:7], s[4:5], s[14:15]
	s_mul_i32 s7, s7, 24
	s_mul_hi_u32 s14, s6, 24
	s_mul_i32 s6, s6, 24
	s_add_i32 s7, s14, s7
	v_mov_b32_e32 v0, s7
	s_waitcnt vmcnt(0)
	v_add_co_u32_e32 v8, vcc, s6, v2
	v_addc_co_u32_e32 v9, vcc, v3, v0, vcc
	v_mov_b32_e32 v11, s4
	global_store_dwordx2 v[8:9], v[13:14], off
	v_mov_b32_e32 v12, s5
	s_waitcnt vmcnt(0)
	global_atomic_cmpswap_x2 v[2:3], v10, v[11:14], s[10:11] offset:24 glc
	s_mov_b64 s[6:7], 0
	s_waitcnt vmcnt(0)
	v_cmp_ne_u64_e32 vcc, v[2:3], v[13:14]
	s_and_b64 exec, exec, vcc
	s_cbranch_execz .LBB1_25
.LBB1_24:                               ; =>This Inner Loop Header: Depth=1
	s_sleep 1
	global_store_dwordx2 v[8:9], v[2:3], off
	v_mov_b32_e32 v0, s4
	v_mov_b32_e32 v1, s5
	s_waitcnt vmcnt(0)
	global_atomic_cmpswap_x2 v[0:1], v10, v[0:3], s[10:11] offset:24 glc
	s_waitcnt vmcnt(0)
	v_cmp_eq_u64_e32 vcc, v[0:1], v[2:3]
	v_mov_b32_e32 v3, v1
	s_or_b64 s[6:7], vcc, s[6:7]
	v_mov_b32_e32 v2, v0
	s_andn2_b64 exec, exec, s[6:7]
	s_cbranch_execnz .LBB1_24
.LBB1_25:
	s_or_b64 exec, exec, s[12:13]
	s_lshr_b32 s6, s33, 6
	s_mov_b64 s[4:5], 0
.LBB1_26:                               ; =>This Inner Loop Header: Depth=1
	v_mov_b32_e32 v0, s6
	buffer_load_ubyte v1, v0, s[0:3], 0 offen
	s_add_i32 s6, s6, 1
	v_mov_b32_e32 v0, s6
	s_waitcnt vmcnt(0)
	v_cmp_eq_u16_e32 vcc, 0, v1
	s_or_b64 s[4:5], vcc, s[4:5]
	s_andn2_b64 exec, exec, s[4:5]
	s_cbranch_execnz .LBB1_26
; %bb.27:
	s_or_b64 exec, exec, s[4:5]
	s_lshr_b32 s4, s33, 6
	s_cmp_lg_u32 s4, -1
	s_cbranch_scc0 .LBB1_112
; %bb.28:
	v_lshrrev_b32_e64 v1, 6, s33
	v_subrev_u32_e32 v28, v1, v0
	v_ashrrev_i32_e32 v29, 31, v28
	v_and_b32_e32 v36, 2, v6
	v_mov_b32_e32 v31, 0
	v_and_b32_e32 v0, -3, v6
	v_mov_b32_e32 v1, v7
	s_mov_b64 s[12:13], 0
	v_lshrrev_b32_e64 v37, 6, s33
	s_mov_b32 s20, 0
	s_movk_i32 s21, 0x1e0
	v_mov_b32_e32 v10, 2
	v_mov_b32_e32 v11, 1
	s_branch .LBB1_30
.LBB1_29:                               ;   in Loop: Header=BB1_30 Depth=1
	s_or_b64 exec, exec, s[6:7]
	v_sub_co_u32_e32 v28, vcc, v28, v38
	v_subb_co_u32_e32 v29, vcc, v29, v39, vcc
	v_cmp_eq_u64_e32 vcc, 0, v[28:29]
	v_add_u32_e32 v37, v37, v38
	s_or_b64 s[12:13], vcc, s[12:13]
	s_andn2_b64 exec, exec, s[12:13]
	s_cbranch_execz .LBB1_113
.LBB1_30:                               ; =>This Loop Header: Depth=1
                                        ;     Child Loop BB1_33 Depth 2
                                        ;     Child Loop BB1_41 Depth 2
	;; [unrolled: 1-line block ×11, first 2 shown]
	v_cmp_gt_u64_e32 vcc, 56, v[28:29]
	v_cmp_gt_u64_e64 s[4:5], 8, v[28:29]
	v_cndmask_b32_e32 v38, 56, v28, vcc
	v_add_u32_e32 v9, 8, v37
	s_and_saveexec_b64 s[6:7], s[4:5]
	s_xor_b64 s[6:7], exec, s[6:7]
	s_cbranch_execz .LBB1_36
; %bb.31:                               ;   in Loop: Header=BB1_30 Depth=1
	v_mov_b32_e32 v2, 0
	v_cmp_ne_u64_e64 s[4:5], 0, v[28:29]
	v_mov_b32_e32 v3, 0
	s_and_saveexec_b64 s[14:15], s[4:5]
	s_cbranch_execz .LBB1_35
; %bb.32:                               ;   in Loop: Header=BB1_30 Depth=1
	v_mov_b32_e32 v2, 0
	s_mov_b32 s22, 0
	s_mov_b64 s[16:17], 0
	v_mov_b32_e32 v3, 0
	s_mov_b64 s[18:19], 0
.LBB1_33:                               ;   Parent Loop BB1_30 Depth=1
                                        ; =>  This Inner Loop Header: Depth=2
	v_add_u32_e32 v8, s22, v37
	buffer_load_ubyte v8, v8, s[0:3], 0 offen
	v_mov_b32_e32 v9, s20
	s_add_i32 s22, s22, 1
	v_cmp_eq_u32_e64 s[4:5], s22, v38
	s_waitcnt vmcnt(0)
	v_and_b32_e32 v8, 0xffff, v8
	v_lshlrev_b64 v[8:9], s18, v[8:9]
	s_add_u32 s18, s18, 8
	s_addc_u32 s19, s19, 0
	v_or_b32_e32 v3, v9, v3
	s_or_b64 s[16:17], s[4:5], s[16:17]
	v_or_b32_e32 v2, v8, v2
	s_andn2_b64 exec, exec, s[16:17]
	s_cbranch_execnz .LBB1_33
; %bb.34:                               ;   in Loop: Header=BB1_30 Depth=1
	s_or_b64 exec, exec, s[16:17]
.LBB1_35:                               ;   in Loop: Header=BB1_30 Depth=1
	s_or_b64 exec, exec, s[14:15]
	v_mov_b32_e32 v9, v37
.LBB1_36:                               ;   in Loop: Header=BB1_30 Depth=1
	s_or_saveexec_b64 s[4:5], s[6:7]
	v_mov_b32_e32 v14, 0
	s_xor_b64 exec, exec, s[4:5]
	s_cbranch_execz .LBB1_38
; %bb.37:                               ;   in Loop: Header=BB1_30 Depth=1
	buffer_load_dword v2, v37, s[0:3], 0 offen
	buffer_load_dword v3, v37, s[0:3], 0 offen offset:4
	v_add_u32_e32 v14, -8, v38
.LBB1_38:                               ;   in Loop: Header=BB1_30 Depth=1
	s_or_b64 exec, exec, s[4:5]
	v_cmp_gt_u32_e64 s[4:5], 8, v14
	v_add_u32_e32 v8, 8, v9
                                        ; implicit-def: $vgpr12_vgpr13
	s_and_saveexec_b64 s[6:7], s[4:5]
	s_xor_b64 s[6:7], exec, s[6:7]
	s_cbranch_execz .LBB1_44
; %bb.39:                               ;   in Loop: Header=BB1_30 Depth=1
	v_mov_b32_e32 v12, 0
	v_mov_b32_e32 v13, 0
	v_cmp_ne_u32_e64 s[4:5], 0, v14
	s_and_saveexec_b64 s[14:15], s[4:5]
	s_cbranch_execz .LBB1_43
; %bb.40:                               ;   in Loop: Header=BB1_30 Depth=1
	v_mov_b32_e32 v12, 0
	s_mov_b32 s22, 0
	s_mov_b64 s[16:17], 0
	v_mov_b32_e32 v13, 0
	s_mov_b64 s[18:19], 0
.LBB1_41:                               ;   Parent Loop BB1_30 Depth=1
                                        ; =>  This Inner Loop Header: Depth=2
	v_add_u32_e32 v8, s22, v9
	buffer_load_ubyte v8, v8, s[0:3], 0 offen
	v_mov_b32_e32 v16, s20
	s_add_i32 s22, s22, 1
	v_cmp_eq_u32_e64 s[4:5], s22, v14
	s_waitcnt vmcnt(0)
	v_and_b32_e32 v15, 0xffff, v8
	v_lshlrev_b64 v[15:16], s18, v[15:16]
	s_add_u32 s18, s18, 8
	s_addc_u32 s19, s19, 0
	v_or_b32_e32 v13, v16, v13
	s_or_b64 s[16:17], s[4:5], s[16:17]
	v_or_b32_e32 v12, v15, v12
	s_andn2_b64 exec, exec, s[16:17]
	s_cbranch_execnz .LBB1_41
; %bb.42:                               ;   in Loop: Header=BB1_30 Depth=1
	s_or_b64 exec, exec, s[16:17]
.LBB1_43:                               ;   in Loop: Header=BB1_30 Depth=1
	s_or_b64 exec, exec, s[14:15]
	v_mov_b32_e32 v8, v9
                                        ; implicit-def: $vgpr14
.LBB1_44:                               ;   in Loop: Header=BB1_30 Depth=1
	s_or_saveexec_b64 s[4:5], s[6:7]
	v_mov_b32_e32 v16, 0
	s_xor_b64 exec, exec, s[4:5]
	s_cbranch_execz .LBB1_46
; %bb.45:                               ;   in Loop: Header=BB1_30 Depth=1
	buffer_load_dword v12, v9, s[0:3], 0 offen
	buffer_load_dword v13, v9, s[0:3], 0 offen offset:4
	v_add_u32_e32 v16, -8, v14
.LBB1_46:                               ;   in Loop: Header=BB1_30 Depth=1
	s_or_b64 exec, exec, s[4:5]
	v_cmp_gt_u32_e64 s[4:5], 8, v16
	v_add_u32_e32 v9, 8, v8
	s_and_saveexec_b64 s[6:7], s[4:5]
	s_xor_b64 s[6:7], exec, s[6:7]
	s_cbranch_execz .LBB1_52
; %bb.47:                               ;   in Loop: Header=BB1_30 Depth=1
	v_mov_b32_e32 v14, 0
	v_mov_b32_e32 v15, 0
	v_cmp_ne_u32_e64 s[4:5], 0, v16
	s_and_saveexec_b64 s[14:15], s[4:5]
	s_cbranch_execz .LBB1_51
; %bb.48:                               ;   in Loop: Header=BB1_30 Depth=1
	v_mov_b32_e32 v14, 0
	s_mov_b32 s22, 0
	s_mov_b64 s[16:17], 0
	v_mov_b32_e32 v15, 0
	s_mov_b64 s[18:19], 0
.LBB1_49:                               ;   Parent Loop BB1_30 Depth=1
                                        ; =>  This Inner Loop Header: Depth=2
	v_add_u32_e32 v9, s22, v8
	buffer_load_ubyte v9, v9, s[0:3], 0 offen
	v_mov_b32_e32 v18, s20
	s_add_i32 s22, s22, 1
	v_cmp_eq_u32_e64 s[4:5], s22, v16
	s_waitcnt vmcnt(0)
	v_and_b32_e32 v17, 0xffff, v9
	v_lshlrev_b64 v[17:18], s18, v[17:18]
	s_add_u32 s18, s18, 8
	s_addc_u32 s19, s19, 0
	v_or_b32_e32 v15, v18, v15
	s_or_b64 s[16:17], s[4:5], s[16:17]
	v_or_b32_e32 v14, v17, v14
	s_andn2_b64 exec, exec, s[16:17]
	s_cbranch_execnz .LBB1_49
; %bb.50:                               ;   in Loop: Header=BB1_30 Depth=1
	s_or_b64 exec, exec, s[16:17]
.LBB1_51:                               ;   in Loop: Header=BB1_30 Depth=1
	s_or_b64 exec, exec, s[14:15]
	v_mov_b32_e32 v9, v8
                                        ; implicit-def: $vgpr16
.LBB1_52:                               ;   in Loop: Header=BB1_30 Depth=1
	s_or_saveexec_b64 s[4:5], s[6:7]
	v_mov_b32_e32 v18, 0
	s_xor_b64 exec, exec, s[4:5]
	s_cbranch_execz .LBB1_54
; %bb.53:                               ;   in Loop: Header=BB1_30 Depth=1
	buffer_load_dword v14, v8, s[0:3], 0 offen
	buffer_load_dword v15, v8, s[0:3], 0 offen offset:4
	v_add_u32_e32 v18, -8, v16
.LBB1_54:                               ;   in Loop: Header=BB1_30 Depth=1
	s_or_b64 exec, exec, s[4:5]
	v_cmp_gt_u32_e64 s[4:5], 8, v18
	v_add_u32_e32 v8, 8, v9
                                        ; implicit-def: $vgpr16_vgpr17
	s_and_saveexec_b64 s[6:7], s[4:5]
	s_xor_b64 s[6:7], exec, s[6:7]
	s_cbranch_execz .LBB1_60
; %bb.55:                               ;   in Loop: Header=BB1_30 Depth=1
	v_mov_b32_e32 v16, 0
	v_mov_b32_e32 v17, 0
	v_cmp_ne_u32_e64 s[4:5], 0, v18
	s_and_saveexec_b64 s[14:15], s[4:5]
	s_cbranch_execz .LBB1_59
; %bb.56:                               ;   in Loop: Header=BB1_30 Depth=1
	v_mov_b32_e32 v16, 0
	s_mov_b32 s22, 0
	s_mov_b64 s[16:17], 0
	v_mov_b32_e32 v17, 0
	s_mov_b64 s[18:19], 0
.LBB1_57:                               ;   Parent Loop BB1_30 Depth=1
                                        ; =>  This Inner Loop Header: Depth=2
	v_add_u32_e32 v8, s22, v9
	buffer_load_ubyte v8, v8, s[0:3], 0 offen
	v_mov_b32_e32 v20, s20
	s_add_i32 s22, s22, 1
	v_cmp_eq_u32_e64 s[4:5], s22, v18
	s_waitcnt vmcnt(0)
	v_and_b32_e32 v19, 0xffff, v8
	v_lshlrev_b64 v[19:20], s18, v[19:20]
	s_add_u32 s18, s18, 8
	s_addc_u32 s19, s19, 0
	v_or_b32_e32 v17, v20, v17
	s_or_b64 s[16:17], s[4:5], s[16:17]
	v_or_b32_e32 v16, v19, v16
	s_andn2_b64 exec, exec, s[16:17]
	s_cbranch_execnz .LBB1_57
; %bb.58:                               ;   in Loop: Header=BB1_30 Depth=1
	s_or_b64 exec, exec, s[16:17]
.LBB1_59:                               ;   in Loop: Header=BB1_30 Depth=1
	s_or_b64 exec, exec, s[14:15]
	v_mov_b32_e32 v8, v9
                                        ; implicit-def: $vgpr18
.LBB1_60:                               ;   in Loop: Header=BB1_30 Depth=1
	s_or_saveexec_b64 s[4:5], s[6:7]
	v_mov_b32_e32 v20, 0
	s_xor_b64 exec, exec, s[4:5]
	s_cbranch_execz .LBB1_62
; %bb.61:                               ;   in Loop: Header=BB1_30 Depth=1
	buffer_load_dword v16, v9, s[0:3], 0 offen
	buffer_load_dword v17, v9, s[0:3], 0 offen offset:4
	v_add_u32_e32 v20, -8, v18
.LBB1_62:                               ;   in Loop: Header=BB1_30 Depth=1
	s_or_b64 exec, exec, s[4:5]
	v_cmp_gt_u32_e64 s[4:5], 8, v20
	v_add_u32_e32 v9, 8, v8
	s_and_saveexec_b64 s[6:7], s[4:5]
	s_xor_b64 s[6:7], exec, s[6:7]
	s_cbranch_execz .LBB1_68
; %bb.63:                               ;   in Loop: Header=BB1_30 Depth=1
	v_mov_b32_e32 v18, 0
	v_mov_b32_e32 v19, 0
	v_cmp_ne_u32_e64 s[4:5], 0, v20
	s_and_saveexec_b64 s[14:15], s[4:5]
	s_cbranch_execz .LBB1_67
; %bb.64:                               ;   in Loop: Header=BB1_30 Depth=1
	v_mov_b32_e32 v18, 0
	s_mov_b32 s22, 0
	s_mov_b64 s[16:17], 0
	v_mov_b32_e32 v19, 0
	s_mov_b64 s[18:19], 0
.LBB1_65:                               ;   Parent Loop BB1_30 Depth=1
                                        ; =>  This Inner Loop Header: Depth=2
	v_add_u32_e32 v9, s22, v8
	buffer_load_ubyte v9, v9, s[0:3], 0 offen
	v_mov_b32_e32 v22, s20
	s_add_i32 s22, s22, 1
	v_cmp_eq_u32_e64 s[4:5], s22, v20
	s_waitcnt vmcnt(0)
	v_and_b32_e32 v21, 0xffff, v9
	v_lshlrev_b64 v[21:22], s18, v[21:22]
	s_add_u32 s18, s18, 8
	s_addc_u32 s19, s19, 0
	v_or_b32_e32 v19, v22, v19
	s_or_b64 s[16:17], s[4:5], s[16:17]
	v_or_b32_e32 v18, v21, v18
	s_andn2_b64 exec, exec, s[16:17]
	s_cbranch_execnz .LBB1_65
; %bb.66:                               ;   in Loop: Header=BB1_30 Depth=1
	s_or_b64 exec, exec, s[16:17]
.LBB1_67:                               ;   in Loop: Header=BB1_30 Depth=1
	s_or_b64 exec, exec, s[14:15]
	v_mov_b32_e32 v9, v8
                                        ; implicit-def: $vgpr20
.LBB1_68:                               ;   in Loop: Header=BB1_30 Depth=1
	s_or_saveexec_b64 s[4:5], s[6:7]
	v_mov_b32_e32 v22, 0
	s_xor_b64 exec, exec, s[4:5]
	s_cbranch_execz .LBB1_70
; %bb.69:                               ;   in Loop: Header=BB1_30 Depth=1
	buffer_load_dword v18, v8, s[0:3], 0 offen
	buffer_load_dword v19, v8, s[0:3], 0 offen offset:4
	v_add_u32_e32 v22, -8, v20
.LBB1_70:                               ;   in Loop: Header=BB1_30 Depth=1
	s_or_b64 exec, exec, s[4:5]
	v_cmp_gt_u32_e64 s[4:5], 8, v22
	v_add_u32_e32 v8, 8, v9
                                        ; implicit-def: $vgpr20_vgpr21
	s_and_saveexec_b64 s[6:7], s[4:5]
	s_xor_b64 s[6:7], exec, s[6:7]
	s_cbranch_execz .LBB1_76
; %bb.71:                               ;   in Loop: Header=BB1_30 Depth=1
	v_mov_b32_e32 v20, 0
	v_mov_b32_e32 v21, 0
	v_cmp_ne_u32_e64 s[4:5], 0, v22
	s_and_saveexec_b64 s[14:15], s[4:5]
	s_cbranch_execz .LBB1_75
; %bb.72:                               ;   in Loop: Header=BB1_30 Depth=1
	v_mov_b32_e32 v20, 0
	s_mov_b32 s22, 0
	s_mov_b64 s[16:17], 0
	v_mov_b32_e32 v21, 0
	s_mov_b64 s[18:19], 0
.LBB1_73:                               ;   Parent Loop BB1_30 Depth=1
                                        ; =>  This Inner Loop Header: Depth=2
	v_add_u32_e32 v8, s22, v9
	buffer_load_ubyte v8, v8, s[0:3], 0 offen
	v_mov_b32_e32 v24, s20
	s_add_i32 s22, s22, 1
	v_cmp_eq_u32_e64 s[4:5], s22, v22
	s_waitcnt vmcnt(0)
	v_and_b32_e32 v23, 0xffff, v8
	v_lshlrev_b64 v[23:24], s18, v[23:24]
	s_add_u32 s18, s18, 8
	s_addc_u32 s19, s19, 0
	v_or_b32_e32 v21, v24, v21
	s_or_b64 s[16:17], s[4:5], s[16:17]
	v_or_b32_e32 v20, v23, v20
	s_andn2_b64 exec, exec, s[16:17]
	s_cbranch_execnz .LBB1_73
; %bb.74:                               ;   in Loop: Header=BB1_30 Depth=1
	s_or_b64 exec, exec, s[16:17]
.LBB1_75:                               ;   in Loop: Header=BB1_30 Depth=1
	s_or_b64 exec, exec, s[14:15]
	v_mov_b32_e32 v8, v9
                                        ; implicit-def: $vgpr22
.LBB1_76:                               ;   in Loop: Header=BB1_30 Depth=1
	s_or_saveexec_b64 s[4:5], s[6:7]
	v_mov_b32_e32 v24, 0
	s_xor_b64 exec, exec, s[4:5]
	s_cbranch_execz .LBB1_78
; %bb.77:                               ;   in Loop: Header=BB1_30 Depth=1
	buffer_load_dword v20, v9, s[0:3], 0 offen
	buffer_load_dword v21, v9, s[0:3], 0 offen offset:4
	v_add_u32_e32 v24, -8, v22
.LBB1_78:                               ;   in Loop: Header=BB1_30 Depth=1
	s_or_b64 exec, exec, s[4:5]
	v_cmp_gt_u32_e64 s[4:5], 8, v24
	s_and_saveexec_b64 s[6:7], s[4:5]
	s_xor_b64 s[6:7], exec, s[6:7]
	s_cbranch_execz .LBB1_84
; %bb.79:                               ;   in Loop: Header=BB1_30 Depth=1
	v_mov_b32_e32 v22, 0
	v_mov_b32_e32 v23, 0
	v_cmp_ne_u32_e64 s[4:5], 0, v24
	s_and_saveexec_b64 s[14:15], s[4:5]
	s_cbranch_execz .LBB1_83
; %bb.80:                               ;   in Loop: Header=BB1_30 Depth=1
	v_mov_b32_e32 v22, 0
	s_mov_b64 s[16:17], 0
	v_mov_b32_e32 v23, 0
	s_mov_b64 s[18:19], 0
.LBB1_81:                               ;   Parent Loop BB1_30 Depth=1
                                        ; =>  This Inner Loop Header: Depth=2
	buffer_load_ubyte v9, v8, s[0:3], 0 offen
	v_mov_b32_e32 v26, s20
	v_add_u32_e32 v24, -1, v24
	v_cmp_eq_u32_e64 s[4:5], 0, v24
	v_add_u32_e32 v8, 1, v8
	s_waitcnt vmcnt(0)
	v_and_b32_e32 v25, 0xffff, v9
	v_lshlrev_b64 v[25:26], s18, v[25:26]
	s_add_u32 s18, s18, 8
	s_addc_u32 s19, s19, 0
	v_or_b32_e32 v23, v26, v23
	s_or_b64 s[16:17], s[4:5], s[16:17]
	v_or_b32_e32 v22, v25, v22
	s_andn2_b64 exec, exec, s[16:17]
	s_cbranch_execnz .LBB1_81
; %bb.82:                               ;   in Loop: Header=BB1_30 Depth=1
	s_or_b64 exec, exec, s[16:17]
.LBB1_83:                               ;   in Loop: Header=BB1_30 Depth=1
	s_or_b64 exec, exec, s[14:15]
                                        ; implicit-def: $vgpr8
.LBB1_84:                               ;   in Loop: Header=BB1_30 Depth=1
	s_andn2_saveexec_b64 s[4:5], s[6:7]
	s_cbranch_execz .LBB1_86
; %bb.85:                               ;   in Loop: Header=BB1_30 Depth=1
	buffer_load_dword v22, v8, s[0:3], 0 offen
	buffer_load_dword v23, v8, s[0:3], 0 offen offset:4
.LBB1_86:                               ;   in Loop: Header=BB1_30 Depth=1
	s_or_b64 exec, exec, s[4:5]
	v_readfirstlane_b32 s4, v34
	v_mov_b32_e32 v8, 0
	v_mov_b32_e32 v9, 0
	v_cmp_eq_u32_e64 s[4:5], s4, v34
	s_and_saveexec_b64 s[14:15], s[4:5]
	s_cbranch_execz .LBB1_92
; %bb.87:                               ;   in Loop: Header=BB1_30 Depth=1
	global_load_dwordx2 v[26:27], v31, s[10:11] offset:24 glc
	s_waitcnt vmcnt(0)
	buffer_wbinvl1_vol
	global_load_dwordx2 v[8:9], v31, s[10:11] offset:40
	global_load_dwordx2 v[24:25], v31, s[10:11]
	s_waitcnt vmcnt(1)
	v_and_b32_e32 v8, v8, v26
	v_and_b32_e32 v9, v9, v27
	v_mul_lo_u32 v9, v9, 24
	v_mul_hi_u32 v30, v8, 24
	v_mul_lo_u32 v8, v8, 24
	v_add_u32_e32 v9, v30, v9
	s_waitcnt vmcnt(0)
	v_add_co_u32_e64 v8, s[6:7], v24, v8
	v_addc_co_u32_e64 v9, s[6:7], v25, v9, s[6:7]
	global_load_dwordx2 v[24:25], v[8:9], off glc
	s_waitcnt vmcnt(0)
	global_atomic_cmpswap_x2 v[8:9], v31, v[24:27], s[10:11] offset:24 glc
	s_waitcnt vmcnt(0)
	buffer_wbinvl1_vol
	v_cmp_ne_u64_e64 s[6:7], v[8:9], v[26:27]
	s_and_saveexec_b64 s[16:17], s[6:7]
	s_cbranch_execz .LBB1_91
; %bb.88:                               ;   in Loop: Header=BB1_30 Depth=1
	s_mov_b64 s[18:19], 0
.LBB1_89:                               ;   Parent Loop BB1_30 Depth=1
                                        ; =>  This Inner Loop Header: Depth=2
	s_sleep 1
	global_load_dwordx2 v[24:25], v31, s[10:11] offset:40
	global_load_dwordx2 v[32:33], v31, s[10:11]
	v_mov_b32_e32 v27, v9
	v_mov_b32_e32 v26, v8
	s_waitcnt vmcnt(1)
	v_and_b32_e32 v8, v24, v26
	s_waitcnt vmcnt(0)
	v_mad_u64_u32 v[8:9], s[6:7], v8, 24, v[32:33]
	v_and_b32_e32 v24, v25, v27
	v_mad_u64_u32 v[24:25], s[6:7], v24, 24, v[9:10]
	v_mov_b32_e32 v9, v24
	global_load_dwordx2 v[24:25], v[8:9], off glc
	s_waitcnt vmcnt(0)
	global_atomic_cmpswap_x2 v[8:9], v31, v[24:27], s[10:11] offset:24 glc
	s_waitcnt vmcnt(0)
	buffer_wbinvl1_vol
	v_cmp_eq_u64_e64 s[6:7], v[8:9], v[26:27]
	s_or_b64 s[18:19], s[6:7], s[18:19]
	s_andn2_b64 exec, exec, s[18:19]
	s_cbranch_execnz .LBB1_89
; %bb.90:                               ;   in Loop: Header=BB1_30 Depth=1
	s_or_b64 exec, exec, s[18:19]
.LBB1_91:                               ;   in Loop: Header=BB1_30 Depth=1
	s_or_b64 exec, exec, s[16:17]
.LBB1_92:                               ;   in Loop: Header=BB1_30 Depth=1
	s_or_b64 exec, exec, s[14:15]
	global_load_dwordx2 v[32:33], v31, s[10:11] offset:40
	global_load_dwordx4 v[24:27], v31, s[10:11]
	v_readfirstlane_b32 s15, v9
	v_readfirstlane_b32 s14, v8
	s_mov_b64 s[16:17], exec
	s_waitcnt vmcnt(1)
	v_readfirstlane_b32 s6, v32
	v_readfirstlane_b32 s7, v33
	s_and_b64 s[18:19], s[6:7], s[14:15]
	s_mul_i32 s6, s19, 24
	s_mul_hi_u32 s7, s18, 24
	s_mul_i32 s22, s18, 24
	s_add_i32 s6, s7, s6
	v_mov_b32_e32 v8, s6
	s_waitcnt vmcnt(0)
	v_add_co_u32_e64 v32, s[6:7], s22, v24
	v_addc_co_u32_e64 v33, s[6:7], v25, v8, s[6:7]
	s_and_saveexec_b64 s[6:7], s[4:5]
	s_cbranch_execz .LBB1_94
; %bb.93:                               ;   in Loop: Header=BB1_30 Depth=1
	v_mov_b32_e32 v8, s16
	v_mov_b32_e32 v9, s17
	global_store_dwordx4 v[32:33], v[8:11], off offset:8
.LBB1_94:                               ;   in Loop: Header=BB1_30 Depth=1
	s_or_b64 exec, exec, s[6:7]
	s_lshl_b64 s[6:7], s[18:19], 12
	v_cndmask_b32_e32 v39, 0, v29, vcc
	v_mov_b32_e32 v8, s7
	v_add_co_u32_e32 v26, vcc, s6, v26
	v_addc_co_u32_e32 v27, vcc, v27, v8, vcc
	v_cmp_gt_u64_e32 vcc, 57, v[28:29]
	v_and_b32_e32 v0, 0xffffff1f, v0
	v_cndmask_b32_e32 v8, 0, v36, vcc
	v_lshl_add_u32 v9, v38, 2, 28
	v_or_b32_e32 v0, v0, v8
	v_and_or_b32 v0, v9, s21, v0
	v_readfirstlane_b32 s6, v26
	v_readfirstlane_b32 s7, v27
	s_nop 4
	global_store_dwordx4 v35, v[0:3], s[6:7]
	global_store_dwordx4 v35, v[12:15], s[6:7] offset:16
	global_store_dwordx4 v35, v[16:19], s[6:7] offset:32
	global_store_dwordx4 v35, v[20:23], s[6:7] offset:48
	s_and_saveexec_b64 s[6:7], s[4:5]
	s_cbranch_execz .LBB1_102
; %bb.95:                               ;   in Loop: Header=BB1_30 Depth=1
	global_load_dwordx2 v[14:15], v31, s[10:11] offset:32 glc
	global_load_dwordx2 v[0:1], v31, s[10:11] offset:40
	v_mov_b32_e32 v12, s14
	v_mov_b32_e32 v13, s15
	s_waitcnt vmcnt(0)
	v_readfirstlane_b32 s16, v0
	v_readfirstlane_b32 s17, v1
	s_and_b64 s[16:17], s[16:17], s[14:15]
	s_mul_i32 s17, s17, 24
	s_mul_hi_u32 s18, s16, 24
	s_mul_i32 s16, s16, 24
	s_add_i32 s17, s18, s17
	v_mov_b32_e32 v0, s17
	v_add_co_u32_e32 v8, vcc, s16, v24
	v_addc_co_u32_e32 v9, vcc, v25, v0, vcc
	global_store_dwordx2 v[8:9], v[14:15], off
	s_waitcnt vmcnt(0)
	global_atomic_cmpswap_x2 v[2:3], v31, v[12:15], s[10:11] offset:32 glc
	s_waitcnt vmcnt(0)
	v_cmp_ne_u64_e32 vcc, v[2:3], v[14:15]
	s_and_saveexec_b64 s[16:17], vcc
	s_cbranch_execz .LBB1_98
; %bb.96:                               ;   in Loop: Header=BB1_30 Depth=1
	s_mov_b64 s[18:19], 0
.LBB1_97:                               ;   Parent Loop BB1_30 Depth=1
                                        ; =>  This Inner Loop Header: Depth=2
	s_sleep 1
	global_store_dwordx2 v[8:9], v[2:3], off
	v_mov_b32_e32 v0, s14
	v_mov_b32_e32 v1, s15
	s_waitcnt vmcnt(0)
	global_atomic_cmpswap_x2 v[0:1], v31, v[0:3], s[10:11] offset:32 glc
	s_waitcnt vmcnt(0)
	v_cmp_eq_u64_e32 vcc, v[0:1], v[2:3]
	v_mov_b32_e32 v3, v1
	s_or_b64 s[18:19], vcc, s[18:19]
	v_mov_b32_e32 v2, v0
	s_andn2_b64 exec, exec, s[18:19]
	s_cbranch_execnz .LBB1_97
.LBB1_98:                               ;   in Loop: Header=BB1_30 Depth=1
	s_or_b64 exec, exec, s[16:17]
	global_load_dwordx2 v[0:1], v31, s[10:11] offset:16
	s_mov_b64 s[18:19], exec
	v_mbcnt_lo_u32_b32 v2, s18, 0
	v_mbcnt_hi_u32_b32 v2, s19, v2
	v_cmp_eq_u32_e32 vcc, 0, v2
	s_and_saveexec_b64 s[16:17], vcc
	s_cbranch_execz .LBB1_100
; %bb.99:                               ;   in Loop: Header=BB1_30 Depth=1
	s_bcnt1_i32_b64 s18, s[18:19]
	v_mov_b32_e32 v30, s18
	s_waitcnt vmcnt(0)
	global_atomic_add_x2 v[0:1], v[30:31], off offset:8
.LBB1_100:                              ;   in Loop: Header=BB1_30 Depth=1
	s_or_b64 exec, exec, s[16:17]
	s_waitcnt vmcnt(0)
	global_load_dwordx2 v[2:3], v[0:1], off offset:16
	s_waitcnt vmcnt(0)
	v_cmp_eq_u64_e32 vcc, 0, v[2:3]
	s_cbranch_vccnz .LBB1_102
; %bb.101:                              ;   in Loop: Header=BB1_30 Depth=1
	global_load_dword v30, v[0:1], off offset:24
	s_waitcnt vmcnt(0)
	v_readfirstlane_b32 s16, v30
	s_and_b32 m0, s16, 0xffffff
	global_store_dwordx2 v[2:3], v[30:31], off
	s_sendmsg sendmsg(MSG_INTERRUPT)
.LBB1_102:                              ;   in Loop: Header=BB1_30 Depth=1
	s_or_b64 exec, exec, s[6:7]
	v_add_co_u32_e32 v0, vcc, v26, v35
	v_addc_co_u32_e32 v1, vcc, 0, v27, vcc
	s_branch .LBB1_106
.LBB1_103:                              ;   in Loop: Header=BB1_106 Depth=2
	s_or_b64 exec, exec, s[6:7]
	v_readfirstlane_b32 s6, v2
	s_cmp_eq_u32 s6, 0
	s_cbranch_scc1 .LBB1_105
; %bb.104:                              ;   in Loop: Header=BB1_106 Depth=2
	s_sleep 1
	s_cbranch_execnz .LBB1_106
	s_branch .LBB1_108
.LBB1_105:                              ;   in Loop: Header=BB1_30 Depth=1
	s_branch .LBB1_108
.LBB1_106:                              ;   Parent Loop BB1_30 Depth=1
                                        ; =>  This Inner Loop Header: Depth=2
	v_mov_b32_e32 v2, 1
	s_and_saveexec_b64 s[6:7], s[4:5]
	s_cbranch_execz .LBB1_103
; %bb.107:                              ;   in Loop: Header=BB1_106 Depth=2
	global_load_dword v2, v[32:33], off offset:20 glc
	s_waitcnt vmcnt(0)
	buffer_wbinvl1_vol
	v_and_b32_e32 v2, 1, v2
	s_branch .LBB1_103
.LBB1_108:                              ;   in Loop: Header=BB1_30 Depth=1
	global_load_dwordx2 v[0:1], v[0:1], off
	s_and_saveexec_b64 s[6:7], s[4:5]
	s_cbranch_execz .LBB1_29
; %bb.109:                              ;   in Loop: Header=BB1_30 Depth=1
	global_load_dwordx2 v[2:3], v31, s[10:11] offset:40
	global_load_dwordx2 v[16:17], v31, s[10:11] offset:24 glc
	global_load_dwordx2 v[8:9], v31, s[10:11]
	s_waitcnt vmcnt(2)
	v_readfirstlane_b32 s16, v2
	v_readfirstlane_b32 s17, v3
	s_add_u32 s18, s16, 1
	s_addc_u32 s19, s17, 0
	s_add_u32 s4, s18, s14
	s_addc_u32 s5, s19, s15
	s_cmp_eq_u64 s[4:5], 0
	s_cselect_b32 s5, s19, s5
	s_cselect_b32 s4, s18, s4
	s_and_b64 s[14:15], s[4:5], s[16:17]
	s_mul_i32 s15, s15, 24
	s_mul_hi_u32 s16, s14, 24
	s_mul_i32 s14, s14, 24
	s_add_i32 s15, s16, s15
	v_mov_b32_e32 v3, s15
	s_waitcnt vmcnt(0)
	v_add_co_u32_e32 v2, vcc, s14, v8
	v_addc_co_u32_e32 v3, vcc, v9, v3, vcc
	v_mov_b32_e32 v14, s4
	global_store_dwordx2 v[2:3], v[16:17], off
	v_mov_b32_e32 v15, s5
	s_waitcnt vmcnt(0)
	global_atomic_cmpswap_x2 v[14:15], v31, v[14:17], s[10:11] offset:24 glc
	s_waitcnt vmcnt(0)
	v_cmp_ne_u64_e32 vcc, v[14:15], v[16:17]
	s_and_b64 exec, exec, vcc
	s_cbranch_execz .LBB1_29
; %bb.110:                              ;   in Loop: Header=BB1_30 Depth=1
	s_mov_b64 s[14:15], 0
.LBB1_111:                              ;   Parent Loop BB1_30 Depth=1
                                        ; =>  This Inner Loop Header: Depth=2
	s_sleep 1
	global_store_dwordx2 v[2:3], v[14:15], off
	v_mov_b32_e32 v12, s4
	v_mov_b32_e32 v13, s5
	s_waitcnt vmcnt(0)
	global_atomic_cmpswap_x2 v[8:9], v31, v[12:15], s[10:11] offset:24 glc
	s_waitcnt vmcnt(0)
	v_cmp_eq_u64_e32 vcc, v[8:9], v[14:15]
	v_mov_b32_e32 v15, v9
	s_or_b64 s[14:15], vcc, s[14:15]
	v_mov_b32_e32 v14, v8
	s_andn2_b64 exec, exec, s[14:15]
	s_cbranch_execnz .LBB1_111
	s_branch .LBB1_29
.LBB1_112:
                                        ; implicit-def: $vgpr0_vgpr1
	s_cbranch_execnz .LBB1_114
	s_branch .LBB1_140
.LBB1_113:
	s_or_b64 exec, exec, s[12:13]
	s_branch .LBB1_140
.LBB1_114:
	v_readfirstlane_b32 s4, v34
	v_mov_b32_e32 v9, 0
	v_mov_b32_e32 v10, 0
	v_cmp_eq_u32_e64 s[4:5], s4, v34
	s_and_saveexec_b64 s[6:7], s[4:5]
	s_cbranch_execz .LBB1_120
; %bb.115:
	s_waitcnt vmcnt(0)
	v_mov_b32_e32 v0, 0
	global_load_dwordx2 v[11:12], v0, s[10:11] offset:24 glc
	s_waitcnt vmcnt(0)
	buffer_wbinvl1_vol
	global_load_dwordx2 v[1:2], v0, s[10:11] offset:40
	global_load_dwordx2 v[8:9], v0, s[10:11]
	s_waitcnt vmcnt(1)
	v_and_b32_e32 v1, v1, v11
	v_and_b32_e32 v2, v2, v12
	v_mul_lo_u32 v2, v2, 24
	v_mul_hi_u32 v3, v1, 24
	v_mul_lo_u32 v1, v1, 24
	v_add_u32_e32 v2, v3, v2
	s_waitcnt vmcnt(0)
	v_add_co_u32_e32 v1, vcc, v8, v1
	v_addc_co_u32_e32 v2, vcc, v9, v2, vcc
	global_load_dwordx2 v[9:10], v[1:2], off glc
	s_waitcnt vmcnt(0)
	global_atomic_cmpswap_x2 v[9:10], v0, v[9:12], s[10:11] offset:24 glc
	s_waitcnt vmcnt(0)
	buffer_wbinvl1_vol
	v_cmp_ne_u64_e32 vcc, v[9:10], v[11:12]
	s_and_saveexec_b64 s[12:13], vcc
	s_cbranch_execz .LBB1_119
; %bb.116:
	s_mov_b64 s[14:15], 0
.LBB1_117:                              ; =>This Inner Loop Header: Depth=1
	s_sleep 1
	global_load_dwordx2 v[1:2], v0, s[10:11] offset:40
	global_load_dwordx2 v[13:14], v0, s[10:11]
	v_mov_b32_e32 v12, v10
	v_mov_b32_e32 v11, v9
	s_waitcnt vmcnt(1)
	v_and_b32_e32 v1, v1, v11
	s_waitcnt vmcnt(0)
	v_mad_u64_u32 v[8:9], s[16:17], v1, 24, v[13:14]
	v_and_b32_e32 v2, v2, v12
	v_mov_b32_e32 v1, v9
	v_mad_u64_u32 v[1:2], s[16:17], v2, 24, v[1:2]
	v_mov_b32_e32 v9, v1
	global_load_dwordx2 v[9:10], v[8:9], off glc
	s_waitcnt vmcnt(0)
	global_atomic_cmpswap_x2 v[9:10], v0, v[9:12], s[10:11] offset:24 glc
	s_waitcnt vmcnt(0)
	buffer_wbinvl1_vol
	v_cmp_eq_u64_e32 vcc, v[9:10], v[11:12]
	s_or_b64 s[14:15], vcc, s[14:15]
	s_andn2_b64 exec, exec, s[14:15]
	s_cbranch_execnz .LBB1_117
; %bb.118:
	s_or_b64 exec, exec, s[14:15]
.LBB1_119:
	s_or_b64 exec, exec, s[12:13]
.LBB1_120:
	s_or_b64 exec, exec, s[6:7]
	v_mov_b32_e32 v8, 0
	global_load_dwordx2 v[11:12], v8, s[10:11] offset:40
	global_load_dwordx4 v[0:3], v8, s[10:11]
	v_readfirstlane_b32 s7, v10
	v_readfirstlane_b32 s6, v9
	s_mov_b64 s[12:13], exec
	s_waitcnt vmcnt(1)
	v_readfirstlane_b32 s14, v11
	v_readfirstlane_b32 s15, v12
	s_and_b64 s[14:15], s[14:15], s[6:7]
	s_mul_i32 s16, s15, 24
	s_mul_hi_u32 s17, s14, 24
	s_mul_i32 s18, s14, 24
	s_add_i32 s16, s17, s16
	v_mov_b32_e32 v9, s16
	s_waitcnt vmcnt(0)
	v_add_co_u32_e32 v10, vcc, s18, v0
	v_addc_co_u32_e32 v11, vcc, v1, v9, vcc
	s_and_saveexec_b64 s[16:17], s[4:5]
	s_cbranch_execz .LBB1_122
; %bb.121:
	v_mov_b32_e32 v12, s12
	v_mov_b32_e32 v13, s13
	;; [unrolled: 1-line block ×4, first 2 shown]
	global_store_dwordx4 v[10:11], v[12:15], off offset:8
.LBB1_122:
	s_or_b64 exec, exec, s[16:17]
	s_lshl_b64 s[12:13], s[14:15], 12
	v_mov_b32_e32 v9, s13
	v_add_co_u32_e32 v2, vcc, s12, v2
	v_addc_co_u32_e32 v3, vcc, v3, v9, vcc
	s_movk_i32 s12, 0xff1f
	v_and_or_b32 v6, v6, s12, 32
	s_mov_b32 s12, 0
	v_mov_b32_e32 v9, v8
	v_readfirstlane_b32 s16, v2
	v_readfirstlane_b32 s17, v3
	v_add_co_u32_e32 v12, vcc, v2, v35
	s_mov_b32 s13, s12
	s_mov_b32 s14, s12
	;; [unrolled: 1-line block ×3, first 2 shown]
	s_nop 0
	global_store_dwordx4 v35, v[6:9], s[16:17]
	v_addc_co_u32_e32 v13, vcc, 0, v3, vcc
	v_mov_b32_e32 v6, s12
	v_mov_b32_e32 v7, s13
	;; [unrolled: 1-line block ×4, first 2 shown]
	global_store_dwordx4 v35, v[6:9], s[16:17] offset:16
	global_store_dwordx4 v35, v[6:9], s[16:17] offset:32
	;; [unrolled: 1-line block ×3, first 2 shown]
	s_and_saveexec_b64 s[12:13], s[4:5]
	s_cbranch_execz .LBB1_130
; %bb.123:
	v_mov_b32_e32 v8, 0
	global_load_dwordx2 v[16:17], v8, s[10:11] offset:32 glc
	global_load_dwordx2 v[2:3], v8, s[10:11] offset:40
	v_mov_b32_e32 v14, s6
	v_mov_b32_e32 v15, s7
	s_waitcnt vmcnt(0)
	v_readfirstlane_b32 s14, v2
	v_readfirstlane_b32 s15, v3
	s_and_b64 s[14:15], s[14:15], s[6:7]
	s_mul_i32 s15, s15, 24
	s_mul_hi_u32 s16, s14, 24
	s_mul_i32 s14, s14, 24
	s_add_i32 s15, s16, s15
	v_mov_b32_e32 v2, s15
	v_add_co_u32_e32 v6, vcc, s14, v0
	v_addc_co_u32_e32 v7, vcc, v1, v2, vcc
	global_store_dwordx2 v[6:7], v[16:17], off
	s_waitcnt vmcnt(0)
	global_atomic_cmpswap_x2 v[2:3], v8, v[14:17], s[10:11] offset:32 glc
	s_waitcnt vmcnt(0)
	v_cmp_ne_u64_e32 vcc, v[2:3], v[16:17]
	s_and_saveexec_b64 s[14:15], vcc
	s_cbranch_execz .LBB1_126
; %bb.124:
	s_mov_b64 s[16:17], 0
.LBB1_125:                              ; =>This Inner Loop Header: Depth=1
	s_sleep 1
	global_store_dwordx2 v[6:7], v[2:3], off
	v_mov_b32_e32 v0, s6
	v_mov_b32_e32 v1, s7
	s_waitcnt vmcnt(0)
	global_atomic_cmpswap_x2 v[0:1], v8, v[0:3], s[10:11] offset:32 glc
	s_waitcnt vmcnt(0)
	v_cmp_eq_u64_e32 vcc, v[0:1], v[2:3]
	v_mov_b32_e32 v3, v1
	s_or_b64 s[16:17], vcc, s[16:17]
	v_mov_b32_e32 v2, v0
	s_andn2_b64 exec, exec, s[16:17]
	s_cbranch_execnz .LBB1_125
.LBB1_126:
	s_or_b64 exec, exec, s[14:15]
	v_mov_b32_e32 v3, 0
	global_load_dwordx2 v[0:1], v3, s[10:11] offset:16
	s_mov_b64 s[14:15], exec
	v_mbcnt_lo_u32_b32 v2, s14, 0
	v_mbcnt_hi_u32_b32 v2, s15, v2
	v_cmp_eq_u32_e32 vcc, 0, v2
	s_and_saveexec_b64 s[16:17], vcc
	s_cbranch_execz .LBB1_128
; %bb.127:
	s_bcnt1_i32_b64 s14, s[14:15]
	v_mov_b32_e32 v2, s14
	s_waitcnt vmcnt(0)
	global_atomic_add_x2 v[0:1], v[2:3], off offset:8
.LBB1_128:
	s_or_b64 exec, exec, s[16:17]
	s_waitcnt vmcnt(0)
	global_load_dwordx2 v[2:3], v[0:1], off offset:16
	s_waitcnt vmcnt(0)
	v_cmp_eq_u64_e32 vcc, 0, v[2:3]
	s_cbranch_vccnz .LBB1_130
; %bb.129:
	global_load_dword v0, v[0:1], off offset:24
	v_mov_b32_e32 v1, 0
	s_waitcnt vmcnt(0)
	v_readfirstlane_b32 s14, v0
	s_and_b32 m0, s14, 0xffffff
	global_store_dwordx2 v[2:3], v[0:1], off
	s_sendmsg sendmsg(MSG_INTERRUPT)
.LBB1_130:
	s_or_b64 exec, exec, s[12:13]
	s_branch .LBB1_134
.LBB1_131:                              ;   in Loop: Header=BB1_134 Depth=1
	s_or_b64 exec, exec, s[12:13]
	v_readfirstlane_b32 s12, v0
	s_cmp_eq_u32 s12, 0
	s_cbranch_scc1 .LBB1_133
; %bb.132:                              ;   in Loop: Header=BB1_134 Depth=1
	s_sleep 1
	s_cbranch_execnz .LBB1_134
	s_branch .LBB1_136
.LBB1_133:
	s_branch .LBB1_136
.LBB1_134:                              ; =>This Inner Loop Header: Depth=1
	v_mov_b32_e32 v0, 1
	s_and_saveexec_b64 s[12:13], s[4:5]
	s_cbranch_execz .LBB1_131
; %bb.135:                              ;   in Loop: Header=BB1_134 Depth=1
	global_load_dword v0, v[10:11], off offset:20 glc
	s_waitcnt vmcnt(0)
	buffer_wbinvl1_vol
	v_and_b32_e32 v0, 1, v0
	s_branch .LBB1_131
.LBB1_136:
	global_load_dwordx2 v[0:1], v[12:13], off
	s_and_saveexec_b64 s[12:13], s[4:5]
	s_cbranch_execz .LBB1_139
; %bb.137:
	v_mov_b32_e32 v10, 0
	global_load_dwordx2 v[2:3], v10, s[10:11] offset:40
	global_load_dwordx2 v[13:14], v10, s[10:11] offset:24 glc
	global_load_dwordx2 v[6:7], v10, s[10:11]
	s_waitcnt vmcnt(2)
	v_readfirstlane_b32 s14, v2
	v_readfirstlane_b32 s15, v3
	s_add_u32 s16, s14, 1
	s_addc_u32 s17, s15, 0
	s_add_u32 s4, s16, s6
	s_addc_u32 s5, s17, s7
	s_cmp_eq_u64 s[4:5], 0
	s_cselect_b32 s5, s17, s5
	s_cselect_b32 s4, s16, s4
	s_and_b64 s[6:7], s[4:5], s[14:15]
	s_mul_i32 s7, s7, 24
	s_mul_hi_u32 s14, s6, 24
	s_mul_i32 s6, s6, 24
	s_add_i32 s7, s14, s7
	v_mov_b32_e32 v3, s7
	s_waitcnt vmcnt(0)
	v_add_co_u32_e32 v2, vcc, s6, v6
	v_addc_co_u32_e32 v3, vcc, v7, v3, vcc
	v_mov_b32_e32 v11, s4
	global_store_dwordx2 v[2:3], v[13:14], off
	v_mov_b32_e32 v12, s5
	s_waitcnt vmcnt(0)
	global_atomic_cmpswap_x2 v[8:9], v10, v[11:14], s[10:11] offset:24 glc
	s_mov_b64 s[6:7], 0
	s_waitcnt vmcnt(0)
	v_cmp_ne_u64_e32 vcc, v[8:9], v[13:14]
	s_and_b64 exec, exec, vcc
	s_cbranch_execz .LBB1_139
.LBB1_138:                              ; =>This Inner Loop Header: Depth=1
	s_sleep 1
	global_store_dwordx2 v[2:3], v[8:9], off
	v_mov_b32_e32 v6, s4
	v_mov_b32_e32 v7, s5
	s_waitcnt vmcnt(0)
	global_atomic_cmpswap_x2 v[6:7], v10, v[6:9], s[10:11] offset:24 glc
	s_waitcnt vmcnt(0)
	v_cmp_eq_u64_e32 vcc, v[6:7], v[8:9]
	v_mov_b32_e32 v9, v7
	s_or_b64 s[6:7], vcc, s[6:7]
	v_mov_b32_e32 v8, v6
	s_andn2_b64 exec, exec, s[6:7]
	s_cbranch_execnz .LBB1_138
.LBB1_139:
	s_or_b64 exec, exec, s[12:13]
.LBB1_140:
	s_getpc_b64 s[6:7]
	s_add_u32 s6, s6, .str.4@rel32@lo+4
	s_addc_u32 s7, s7, .str.4@rel32@hi+12
	s_cmp_lg_u64 s[6:7], 0
	s_cbranch_scc0 .LBB1_225
; %bb.141:
	s_getpc_b64 s[4:5]
	s_add_u32 s4, s4, .str.4@rel32@lo+80
	s_addc_u32 s5, s5, .str.4@rel32@hi+88
	s_sub_i32 s12, s4, s6
	s_ashr_i32 s13, s12, 31
	s_waitcnt vmcnt(0)
	v_and_b32_e32 v32, 2, v0
	v_mov_b32_e32 v3, 0
	v_and_b32_e32 v6, -3, v0
	v_mov_b32_e32 v7, v1
	v_mov_b32_e32 v12, 2
	;; [unrolled: 1-line block ×3, first 2 shown]
	s_branch .LBB1_143
.LBB1_142:                              ;   in Loop: Header=BB1_143 Depth=1
	s_or_b64 exec, exec, s[18:19]
	s_sub_u32 s12, s12, s14
	s_subb_u32 s13, s13, s15
	s_add_u32 s6, s6, s14
	s_addc_u32 s7, s7, s15
	s_cmp_lg_u64 s[12:13], 0
	s_cbranch_scc0 .LBB1_226
.LBB1_143:                              ; =>This Loop Header: Depth=1
                                        ;     Child Loop BB1_146 Depth 2
                                        ;     Child Loop BB1_154 Depth 2
                                        ;     Child Loop BB1_162 Depth 2
                                        ;     Child Loop BB1_170 Depth 2
                                        ;     Child Loop BB1_178 Depth 2
                                        ;     Child Loop BB1_186 Depth 2
                                        ;     Child Loop BB1_194 Depth 2
                                        ;     Child Loop BB1_202 Depth 2
                                        ;     Child Loop BB1_210 Depth 2
                                        ;     Child Loop BB1_219 Depth 2
                                        ;     Child Loop BB1_224 Depth 2
	v_cmp_lt_u64_e64 s[4:5], s[12:13], 56
	v_cmp_gt_u64_e64 s[16:17], s[12:13], 7
	s_and_b64 s[4:5], s[4:5], exec
	s_cselect_b32 s15, s13, 0
	s_cselect_b32 s14, s12, 56
	s_add_u32 s4, s6, 8
	s_addc_u32 s5, s7, 0
	s_and_b64 vcc, exec, s[16:17]
	s_cbranch_vccnz .LBB1_147
; %bb.144:                              ;   in Loop: Header=BB1_143 Depth=1
	s_cmp_eq_u64 s[12:13], 0
	s_cbranch_scc1 .LBB1_148
; %bb.145:                              ;   in Loop: Header=BB1_143 Depth=1
	v_mov_b32_e32 v8, 0
	s_lshl_b64 s[4:5], s[14:15], 3
	s_mov_b64 s[16:17], 0
	v_mov_b32_e32 v9, 0
	s_mov_b64 s[18:19], s[6:7]
.LBB1_146:                              ;   Parent Loop BB1_143 Depth=1
                                        ; =>  This Inner Loop Header: Depth=2
	global_load_ubyte v2, v3, s[18:19]
	s_waitcnt vmcnt(0)
	v_and_b32_e32 v2, 0xffff, v2
	v_lshlrev_b64 v[10:11], s16, v[2:3]
	s_add_u32 s16, s16, 8
	s_addc_u32 s17, s17, 0
	s_add_u32 s18, s18, 1
	s_addc_u32 s19, s19, 0
	v_or_b32_e32 v8, v10, v8
	s_cmp_lg_u32 s4, s16
	v_or_b32_e32 v9, v11, v9
	s_cbranch_scc1 .LBB1_146
	s_branch .LBB1_149
.LBB1_147:                              ;   in Loop: Header=BB1_143 Depth=1
	s_mov_b32 s20, 0
	s_branch .LBB1_150
.LBB1_148:                              ;   in Loop: Header=BB1_143 Depth=1
	v_mov_b32_e32 v8, 0
	v_mov_b32_e32 v9, 0
.LBB1_149:                              ;   in Loop: Header=BB1_143 Depth=1
	s_mov_b64 s[4:5], s[6:7]
	s_mov_b32 s20, 0
	s_cbranch_execnz .LBB1_151
.LBB1_150:                              ;   in Loop: Header=BB1_143 Depth=1
	global_load_dwordx2 v[8:9], v3, s[6:7]
	s_add_i32 s20, s14, -8
.LBB1_151:                              ;   in Loop: Header=BB1_143 Depth=1
	s_add_u32 s16, s4, 8
	s_addc_u32 s17, s5, 0
	s_cmp_gt_u32 s20, 7
	s_cbranch_scc1 .LBB1_155
; %bb.152:                              ;   in Loop: Header=BB1_143 Depth=1
	s_cmp_eq_u32 s20, 0
	s_cbranch_scc1 .LBB1_156
; %bb.153:                              ;   in Loop: Header=BB1_143 Depth=1
	v_mov_b32_e32 v14, 0
	s_mov_b64 s[16:17], 0
	v_mov_b32_e32 v15, 0
	s_mov_b64 s[18:19], 0
.LBB1_154:                              ;   Parent Loop BB1_143 Depth=1
                                        ; =>  This Inner Loop Header: Depth=2
	s_add_u32 s22, s4, s18
	s_addc_u32 s23, s5, s19
	global_load_ubyte v2, v3, s[22:23]
	s_add_u32 s18, s18, 1
	s_addc_u32 s19, s19, 0
	s_waitcnt vmcnt(0)
	v_and_b32_e32 v2, 0xffff, v2
	v_lshlrev_b64 v[10:11], s16, v[2:3]
	s_add_u32 s16, s16, 8
	s_addc_u32 s17, s17, 0
	v_or_b32_e32 v14, v10, v14
	s_cmp_lg_u32 s20, s18
	v_or_b32_e32 v15, v11, v15
	s_cbranch_scc1 .LBB1_154
	s_branch .LBB1_157
.LBB1_155:                              ;   in Loop: Header=BB1_143 Depth=1
                                        ; implicit-def: $vgpr14_vgpr15
	s_mov_b32 s21, 0
	s_branch .LBB1_158
.LBB1_156:                              ;   in Loop: Header=BB1_143 Depth=1
	v_mov_b32_e32 v14, 0
	v_mov_b32_e32 v15, 0
.LBB1_157:                              ;   in Loop: Header=BB1_143 Depth=1
	s_mov_b64 s[16:17], s[4:5]
	s_mov_b32 s21, 0
	s_cbranch_execnz .LBB1_159
.LBB1_158:                              ;   in Loop: Header=BB1_143 Depth=1
	global_load_dwordx2 v[14:15], v3, s[4:5]
	s_add_i32 s21, s20, -8
.LBB1_159:                              ;   in Loop: Header=BB1_143 Depth=1
	s_add_u32 s4, s16, 8
	s_addc_u32 s5, s17, 0
	s_cmp_gt_u32 s21, 7
	s_cbranch_scc1 .LBB1_163
; %bb.160:                              ;   in Loop: Header=BB1_143 Depth=1
	s_cmp_eq_u32 s21, 0
	s_cbranch_scc1 .LBB1_164
; %bb.161:                              ;   in Loop: Header=BB1_143 Depth=1
	v_mov_b32_e32 v16, 0
	s_mov_b64 s[4:5], 0
	v_mov_b32_e32 v17, 0
	s_mov_b64 s[18:19], 0
.LBB1_162:                              ;   Parent Loop BB1_143 Depth=1
                                        ; =>  This Inner Loop Header: Depth=2
	s_add_u32 s22, s16, s18
	s_addc_u32 s23, s17, s19
	global_load_ubyte v2, v3, s[22:23]
	s_add_u32 s18, s18, 1
	s_addc_u32 s19, s19, 0
	s_waitcnt vmcnt(0)
	v_and_b32_e32 v2, 0xffff, v2
	v_lshlrev_b64 v[10:11], s4, v[2:3]
	s_add_u32 s4, s4, 8
	s_addc_u32 s5, s5, 0
	v_or_b32_e32 v16, v10, v16
	s_cmp_lg_u32 s21, s18
	v_or_b32_e32 v17, v11, v17
	s_cbranch_scc1 .LBB1_162
	s_branch .LBB1_165
.LBB1_163:                              ;   in Loop: Header=BB1_143 Depth=1
	s_mov_b32 s20, 0
	s_branch .LBB1_166
.LBB1_164:                              ;   in Loop: Header=BB1_143 Depth=1
	v_mov_b32_e32 v16, 0
	v_mov_b32_e32 v17, 0
.LBB1_165:                              ;   in Loop: Header=BB1_143 Depth=1
	s_mov_b64 s[4:5], s[16:17]
	s_mov_b32 s20, 0
	s_cbranch_execnz .LBB1_167
.LBB1_166:                              ;   in Loop: Header=BB1_143 Depth=1
	global_load_dwordx2 v[16:17], v3, s[16:17]
	s_add_i32 s20, s21, -8
.LBB1_167:                              ;   in Loop: Header=BB1_143 Depth=1
	s_add_u32 s16, s4, 8
	s_addc_u32 s17, s5, 0
	s_cmp_gt_u32 s20, 7
	s_cbranch_scc1 .LBB1_171
; %bb.168:                              ;   in Loop: Header=BB1_143 Depth=1
	s_cmp_eq_u32 s20, 0
	s_cbranch_scc1 .LBB1_172
; %bb.169:                              ;   in Loop: Header=BB1_143 Depth=1
	v_mov_b32_e32 v18, 0
	s_mov_b64 s[16:17], 0
	v_mov_b32_e32 v19, 0
	s_mov_b64 s[18:19], 0
.LBB1_170:                              ;   Parent Loop BB1_143 Depth=1
                                        ; =>  This Inner Loop Header: Depth=2
	s_add_u32 s22, s4, s18
	s_addc_u32 s23, s5, s19
	global_load_ubyte v2, v3, s[22:23]
	s_add_u32 s18, s18, 1
	s_addc_u32 s19, s19, 0
	s_waitcnt vmcnt(0)
	v_and_b32_e32 v2, 0xffff, v2
	v_lshlrev_b64 v[10:11], s16, v[2:3]
	s_add_u32 s16, s16, 8
	s_addc_u32 s17, s17, 0
	v_or_b32_e32 v18, v10, v18
	s_cmp_lg_u32 s20, s18
	v_or_b32_e32 v19, v11, v19
	s_cbranch_scc1 .LBB1_170
	s_branch .LBB1_173
.LBB1_171:                              ;   in Loop: Header=BB1_143 Depth=1
                                        ; implicit-def: $vgpr18_vgpr19
	s_mov_b32 s21, 0
	s_branch .LBB1_174
.LBB1_172:                              ;   in Loop: Header=BB1_143 Depth=1
	v_mov_b32_e32 v18, 0
	v_mov_b32_e32 v19, 0
.LBB1_173:                              ;   in Loop: Header=BB1_143 Depth=1
	s_mov_b64 s[16:17], s[4:5]
	s_mov_b32 s21, 0
	s_cbranch_execnz .LBB1_175
.LBB1_174:                              ;   in Loop: Header=BB1_143 Depth=1
	global_load_dwordx2 v[18:19], v3, s[4:5]
	s_add_i32 s21, s20, -8
.LBB1_175:                              ;   in Loop: Header=BB1_143 Depth=1
	s_add_u32 s4, s16, 8
	s_addc_u32 s5, s17, 0
	s_cmp_gt_u32 s21, 7
	s_cbranch_scc1 .LBB1_179
; %bb.176:                              ;   in Loop: Header=BB1_143 Depth=1
	s_cmp_eq_u32 s21, 0
	s_cbranch_scc1 .LBB1_180
; %bb.177:                              ;   in Loop: Header=BB1_143 Depth=1
	v_mov_b32_e32 v20, 0
	s_mov_b64 s[4:5], 0
	v_mov_b32_e32 v21, 0
	s_mov_b64 s[18:19], 0
.LBB1_178:                              ;   Parent Loop BB1_143 Depth=1
                                        ; =>  This Inner Loop Header: Depth=2
	s_add_u32 s22, s16, s18
	s_addc_u32 s23, s17, s19
	global_load_ubyte v2, v3, s[22:23]
	s_add_u32 s18, s18, 1
	s_addc_u32 s19, s19, 0
	s_waitcnt vmcnt(0)
	v_and_b32_e32 v2, 0xffff, v2
	v_lshlrev_b64 v[10:11], s4, v[2:3]
	s_add_u32 s4, s4, 8
	s_addc_u32 s5, s5, 0
	v_or_b32_e32 v20, v10, v20
	s_cmp_lg_u32 s21, s18
	v_or_b32_e32 v21, v11, v21
	s_cbranch_scc1 .LBB1_178
	s_branch .LBB1_181
.LBB1_179:                              ;   in Loop: Header=BB1_143 Depth=1
	s_mov_b32 s20, 0
	s_branch .LBB1_182
.LBB1_180:                              ;   in Loop: Header=BB1_143 Depth=1
	v_mov_b32_e32 v20, 0
	v_mov_b32_e32 v21, 0
.LBB1_181:                              ;   in Loop: Header=BB1_143 Depth=1
	s_mov_b64 s[4:5], s[16:17]
	s_mov_b32 s20, 0
	s_cbranch_execnz .LBB1_183
.LBB1_182:                              ;   in Loop: Header=BB1_143 Depth=1
	global_load_dwordx2 v[20:21], v3, s[16:17]
	s_add_i32 s20, s21, -8
.LBB1_183:                              ;   in Loop: Header=BB1_143 Depth=1
	s_add_u32 s16, s4, 8
	s_addc_u32 s17, s5, 0
	s_cmp_gt_u32 s20, 7
	s_cbranch_scc1 .LBB1_187
; %bb.184:                              ;   in Loop: Header=BB1_143 Depth=1
	s_cmp_eq_u32 s20, 0
	s_cbranch_scc1 .LBB1_188
; %bb.185:                              ;   in Loop: Header=BB1_143 Depth=1
	v_mov_b32_e32 v22, 0
	s_mov_b64 s[16:17], 0
	v_mov_b32_e32 v23, 0
	s_mov_b64 s[18:19], 0
.LBB1_186:                              ;   Parent Loop BB1_143 Depth=1
                                        ; =>  This Inner Loop Header: Depth=2
	s_add_u32 s22, s4, s18
	s_addc_u32 s23, s5, s19
	global_load_ubyte v2, v3, s[22:23]
	s_add_u32 s18, s18, 1
	s_addc_u32 s19, s19, 0
	s_waitcnt vmcnt(0)
	v_and_b32_e32 v2, 0xffff, v2
	v_lshlrev_b64 v[10:11], s16, v[2:3]
	s_add_u32 s16, s16, 8
	s_addc_u32 s17, s17, 0
	v_or_b32_e32 v22, v10, v22
	s_cmp_lg_u32 s20, s18
	v_or_b32_e32 v23, v11, v23
	s_cbranch_scc1 .LBB1_186
	s_branch .LBB1_189
.LBB1_187:                              ;   in Loop: Header=BB1_143 Depth=1
                                        ; implicit-def: $vgpr22_vgpr23
	s_mov_b32 s21, 0
	s_branch .LBB1_190
.LBB1_188:                              ;   in Loop: Header=BB1_143 Depth=1
	v_mov_b32_e32 v22, 0
	v_mov_b32_e32 v23, 0
.LBB1_189:                              ;   in Loop: Header=BB1_143 Depth=1
	s_mov_b64 s[16:17], s[4:5]
	s_mov_b32 s21, 0
	s_cbranch_execnz .LBB1_191
.LBB1_190:                              ;   in Loop: Header=BB1_143 Depth=1
	global_load_dwordx2 v[22:23], v3, s[4:5]
	s_add_i32 s21, s20, -8
.LBB1_191:                              ;   in Loop: Header=BB1_143 Depth=1
	s_cmp_gt_u32 s21, 7
	s_cbranch_scc1 .LBB1_195
; %bb.192:                              ;   in Loop: Header=BB1_143 Depth=1
	s_cmp_eq_u32 s21, 0
	s_cbranch_scc1 .LBB1_196
; %bb.193:                              ;   in Loop: Header=BB1_143 Depth=1
	v_mov_b32_e32 v24, 0
	s_mov_b64 s[4:5], 0
	v_mov_b32_e32 v25, 0
	s_mov_b64 s[18:19], s[16:17]
.LBB1_194:                              ;   Parent Loop BB1_143 Depth=1
                                        ; =>  This Inner Loop Header: Depth=2
	global_load_ubyte v2, v3, s[18:19]
	s_add_i32 s21, s21, -1
	s_waitcnt vmcnt(0)
	v_and_b32_e32 v2, 0xffff, v2
	v_lshlrev_b64 v[10:11], s4, v[2:3]
	s_add_u32 s4, s4, 8
	s_addc_u32 s5, s5, 0
	s_add_u32 s18, s18, 1
	s_addc_u32 s19, s19, 0
	v_or_b32_e32 v24, v10, v24
	s_cmp_lg_u32 s21, 0
	v_or_b32_e32 v25, v11, v25
	s_cbranch_scc1 .LBB1_194
	s_branch .LBB1_197
.LBB1_195:                              ;   in Loop: Header=BB1_143 Depth=1
	s_branch .LBB1_198
.LBB1_196:                              ;   in Loop: Header=BB1_143 Depth=1
	v_mov_b32_e32 v24, 0
	v_mov_b32_e32 v25, 0
.LBB1_197:                              ;   in Loop: Header=BB1_143 Depth=1
	s_cbranch_execnz .LBB1_199
.LBB1_198:                              ;   in Loop: Header=BB1_143 Depth=1
	global_load_dwordx2 v[24:25], v3, s[16:17]
.LBB1_199:                              ;   in Loop: Header=BB1_143 Depth=1
	v_readfirstlane_b32 s4, v34
	v_mov_b32_e32 v10, 0
	v_mov_b32_e32 v11, 0
	v_cmp_eq_u32_e64 s[4:5], s4, v34
	s_and_saveexec_b64 s[16:17], s[4:5]
	s_cbranch_execz .LBB1_205
; %bb.200:                              ;   in Loop: Header=BB1_143 Depth=1
	global_load_dwordx2 v[28:29], v3, s[10:11] offset:24 glc
	s_waitcnt vmcnt(0)
	buffer_wbinvl1_vol
	global_load_dwordx2 v[10:11], v3, s[10:11] offset:40
	global_load_dwordx2 v[26:27], v3, s[10:11]
	s_waitcnt vmcnt(1)
	v_and_b32_e32 v2, v10, v28
	v_and_b32_e32 v10, v11, v29
	v_mul_lo_u32 v10, v10, 24
	v_mul_hi_u32 v11, v2, 24
	v_mul_lo_u32 v2, v2, 24
	v_add_u32_e32 v11, v11, v10
	s_waitcnt vmcnt(0)
	v_add_co_u32_e32 v10, vcc, v26, v2
	v_addc_co_u32_e32 v11, vcc, v27, v11, vcc
	global_load_dwordx2 v[26:27], v[10:11], off glc
	s_waitcnt vmcnt(0)
	global_atomic_cmpswap_x2 v[10:11], v3, v[26:29], s[10:11] offset:24 glc
	s_waitcnt vmcnt(0)
	buffer_wbinvl1_vol
	v_cmp_ne_u64_e32 vcc, v[10:11], v[28:29]
	s_and_saveexec_b64 s[18:19], vcc
	s_cbranch_execz .LBB1_204
; %bb.201:                              ;   in Loop: Header=BB1_143 Depth=1
	s_mov_b64 s[20:21], 0
.LBB1_202:                              ;   Parent Loop BB1_143 Depth=1
                                        ; =>  This Inner Loop Header: Depth=2
	s_sleep 1
	global_load_dwordx2 v[26:27], v3, s[10:11] offset:40
	global_load_dwordx2 v[30:31], v3, s[10:11]
	v_mov_b32_e32 v29, v11
	v_mov_b32_e32 v28, v10
	s_waitcnt vmcnt(1)
	v_and_b32_e32 v2, v26, v28
	s_waitcnt vmcnt(0)
	v_mad_u64_u32 v[10:11], s[22:23], v2, 24, v[30:31]
	v_and_b32_e32 v26, v27, v29
	v_mov_b32_e32 v2, v11
	v_mad_u64_u32 v[26:27], s[22:23], v26, 24, v[2:3]
	v_mov_b32_e32 v11, v26
	global_load_dwordx2 v[26:27], v[10:11], off glc
	s_waitcnt vmcnt(0)
	global_atomic_cmpswap_x2 v[10:11], v3, v[26:29], s[10:11] offset:24 glc
	s_waitcnt vmcnt(0)
	buffer_wbinvl1_vol
	v_cmp_eq_u64_e32 vcc, v[10:11], v[28:29]
	s_or_b64 s[20:21], vcc, s[20:21]
	s_andn2_b64 exec, exec, s[20:21]
	s_cbranch_execnz .LBB1_202
; %bb.203:                              ;   in Loop: Header=BB1_143 Depth=1
	s_or_b64 exec, exec, s[20:21]
.LBB1_204:                              ;   in Loop: Header=BB1_143 Depth=1
	s_or_b64 exec, exec, s[18:19]
.LBB1_205:                              ;   in Loop: Header=BB1_143 Depth=1
	s_or_b64 exec, exec, s[16:17]
	global_load_dwordx2 v[30:31], v3, s[10:11] offset:40
	global_load_dwordx4 v[26:29], v3, s[10:11]
	v_readfirstlane_b32 s17, v11
	v_readfirstlane_b32 s16, v10
	s_mov_b64 s[18:19], exec
	s_waitcnt vmcnt(1)
	v_readfirstlane_b32 s20, v30
	v_readfirstlane_b32 s21, v31
	s_and_b64 s[20:21], s[20:21], s[16:17]
	s_mul_i32 s22, s21, 24
	s_mul_hi_u32 s23, s20, 24
	s_mul_i32 s24, s20, 24
	s_add_i32 s22, s23, s22
	v_mov_b32_e32 v2, s22
	s_waitcnt vmcnt(0)
	v_add_co_u32_e32 v30, vcc, s24, v26
	v_addc_co_u32_e32 v31, vcc, v27, v2, vcc
	s_and_saveexec_b64 s[22:23], s[4:5]
	s_cbranch_execz .LBB1_207
; %bb.206:                              ;   in Loop: Header=BB1_143 Depth=1
	v_mov_b32_e32 v10, s18
	v_mov_b32_e32 v11, s19
	global_store_dwordx4 v[30:31], v[10:13], off offset:8
.LBB1_207:                              ;   in Loop: Header=BB1_143 Depth=1
	s_or_b64 exec, exec, s[22:23]
	s_lshl_b64 s[18:19], s[20:21], 12
	v_mov_b32_e32 v2, s19
	v_add_co_u32_e32 v28, vcc, s18, v28
	v_addc_co_u32_e32 v29, vcc, v29, v2, vcc
	v_cmp_lt_u64_e64 vcc, s[12:13], 57
	s_lshl_b32 s18, s14, 2
	v_cndmask_b32_e32 v2, 0, v32, vcc
	s_add_i32 s18, s18, 28
	v_and_b32_e32 v6, 0xffffff1f, v6
	s_and_b32 s18, s18, 0x1e0
	v_or_b32_e32 v2, v6, v2
	v_or_b32_e32 v6, s18, v2
	v_readfirstlane_b32 s18, v28
	v_readfirstlane_b32 s19, v29
	s_nop 4
	global_store_dwordx4 v35, v[6:9], s[18:19]
	global_store_dwordx4 v35, v[14:17], s[18:19] offset:16
	global_store_dwordx4 v35, v[18:21], s[18:19] offset:32
	;; [unrolled: 1-line block ×3, first 2 shown]
	s_and_saveexec_b64 s[18:19], s[4:5]
	s_cbranch_execz .LBB1_215
; %bb.208:                              ;   in Loop: Header=BB1_143 Depth=1
	global_load_dwordx2 v[16:17], v3, s[10:11] offset:32 glc
	global_load_dwordx2 v[6:7], v3, s[10:11] offset:40
	v_mov_b32_e32 v14, s16
	v_mov_b32_e32 v15, s17
	s_waitcnt vmcnt(0)
	v_readfirstlane_b32 s20, v6
	v_readfirstlane_b32 s21, v7
	s_and_b64 s[20:21], s[20:21], s[16:17]
	s_mul_i32 s21, s21, 24
	s_mul_hi_u32 s22, s20, 24
	s_mul_i32 s20, s20, 24
	s_add_i32 s21, s22, s21
	v_mov_b32_e32 v2, s21
	v_add_co_u32_e32 v10, vcc, s20, v26
	v_addc_co_u32_e32 v11, vcc, v27, v2, vcc
	global_store_dwordx2 v[10:11], v[16:17], off
	s_waitcnt vmcnt(0)
	global_atomic_cmpswap_x2 v[8:9], v3, v[14:17], s[10:11] offset:32 glc
	s_waitcnt vmcnt(0)
	v_cmp_ne_u64_e32 vcc, v[8:9], v[16:17]
	s_and_saveexec_b64 s[20:21], vcc
	s_cbranch_execz .LBB1_211
; %bb.209:                              ;   in Loop: Header=BB1_143 Depth=1
	s_mov_b64 s[22:23], 0
.LBB1_210:                              ;   Parent Loop BB1_143 Depth=1
                                        ; =>  This Inner Loop Header: Depth=2
	s_sleep 1
	global_store_dwordx2 v[10:11], v[8:9], off
	v_mov_b32_e32 v6, s16
	v_mov_b32_e32 v7, s17
	s_waitcnt vmcnt(0)
	global_atomic_cmpswap_x2 v[6:7], v3, v[6:9], s[10:11] offset:32 glc
	s_waitcnt vmcnt(0)
	v_cmp_eq_u64_e32 vcc, v[6:7], v[8:9]
	v_mov_b32_e32 v9, v7
	s_or_b64 s[22:23], vcc, s[22:23]
	v_mov_b32_e32 v8, v6
	s_andn2_b64 exec, exec, s[22:23]
	s_cbranch_execnz .LBB1_210
.LBB1_211:                              ;   in Loop: Header=BB1_143 Depth=1
	s_or_b64 exec, exec, s[20:21]
	global_load_dwordx2 v[6:7], v3, s[10:11] offset:16
	s_mov_b64 s[22:23], exec
	v_mbcnt_lo_u32_b32 v2, s22, 0
	v_mbcnt_hi_u32_b32 v2, s23, v2
	v_cmp_eq_u32_e32 vcc, 0, v2
	s_and_saveexec_b64 s[20:21], vcc
	s_cbranch_execz .LBB1_213
; %bb.212:                              ;   in Loop: Header=BB1_143 Depth=1
	s_bcnt1_i32_b64 s22, s[22:23]
	v_mov_b32_e32 v2, s22
	s_waitcnt vmcnt(0)
	global_atomic_add_x2 v[6:7], v[2:3], off offset:8
.LBB1_213:                              ;   in Loop: Header=BB1_143 Depth=1
	s_or_b64 exec, exec, s[20:21]
	s_waitcnt vmcnt(0)
	global_load_dwordx2 v[8:9], v[6:7], off offset:16
	s_waitcnt vmcnt(0)
	v_cmp_eq_u64_e32 vcc, 0, v[8:9]
	s_cbranch_vccnz .LBB1_215
; %bb.214:                              ;   in Loop: Header=BB1_143 Depth=1
	global_load_dword v2, v[6:7], off offset:24
	s_waitcnt vmcnt(0)
	v_readfirstlane_b32 s20, v2
	s_and_b32 m0, s20, 0xffffff
	global_store_dwordx2 v[8:9], v[2:3], off
	s_sendmsg sendmsg(MSG_INTERRUPT)
.LBB1_215:                              ;   in Loop: Header=BB1_143 Depth=1
	s_or_b64 exec, exec, s[18:19]
	v_add_co_u32_e32 v6, vcc, v28, v35
	v_addc_co_u32_e32 v7, vcc, 0, v29, vcc
	s_branch .LBB1_219
.LBB1_216:                              ;   in Loop: Header=BB1_219 Depth=2
	s_or_b64 exec, exec, s[18:19]
	v_readfirstlane_b32 s18, v2
	s_cmp_eq_u32 s18, 0
	s_cbranch_scc1 .LBB1_218
; %bb.217:                              ;   in Loop: Header=BB1_219 Depth=2
	s_sleep 1
	s_cbranch_execnz .LBB1_219
	s_branch .LBB1_221
.LBB1_218:                              ;   in Loop: Header=BB1_143 Depth=1
	s_branch .LBB1_221
.LBB1_219:                              ;   Parent Loop BB1_143 Depth=1
                                        ; =>  This Inner Loop Header: Depth=2
	v_mov_b32_e32 v2, 1
	s_and_saveexec_b64 s[18:19], s[4:5]
	s_cbranch_execz .LBB1_216
; %bb.220:                              ;   in Loop: Header=BB1_219 Depth=2
	global_load_dword v2, v[30:31], off offset:20 glc
	s_waitcnt vmcnt(0)
	buffer_wbinvl1_vol
	v_and_b32_e32 v2, 1, v2
	s_branch .LBB1_216
.LBB1_221:                              ;   in Loop: Header=BB1_143 Depth=1
	global_load_dwordx2 v[6:7], v[6:7], off
	s_and_saveexec_b64 s[18:19], s[4:5]
	s_cbranch_execz .LBB1_142
; %bb.222:                              ;   in Loop: Header=BB1_143 Depth=1
	global_load_dwordx2 v[8:9], v3, s[10:11] offset:40
	global_load_dwordx2 v[18:19], v3, s[10:11] offset:24 glc
	global_load_dwordx2 v[10:11], v3, s[10:11]
	s_waitcnt vmcnt(2)
	v_readfirstlane_b32 s20, v8
	v_readfirstlane_b32 s21, v9
	s_add_u32 s22, s20, 1
	s_addc_u32 s23, s21, 0
	s_add_u32 s4, s22, s16
	s_addc_u32 s5, s23, s17
	s_cmp_eq_u64 s[4:5], 0
	s_cselect_b32 s5, s23, s5
	s_cselect_b32 s4, s22, s4
	s_and_b64 s[16:17], s[4:5], s[20:21]
	s_mul_i32 s17, s17, 24
	s_mul_hi_u32 s20, s16, 24
	s_mul_i32 s16, s16, 24
	s_add_i32 s17, s20, s17
	v_mov_b32_e32 v2, s17
	s_waitcnt vmcnt(0)
	v_add_co_u32_e32 v14, vcc, s16, v10
	v_addc_co_u32_e32 v15, vcc, v11, v2, vcc
	v_mov_b32_e32 v16, s4
	global_store_dwordx2 v[14:15], v[18:19], off
	v_mov_b32_e32 v17, s5
	s_waitcnt vmcnt(0)
	global_atomic_cmpswap_x2 v[10:11], v3, v[16:19], s[10:11] offset:24 glc
	s_waitcnt vmcnt(0)
	v_cmp_ne_u64_e32 vcc, v[10:11], v[18:19]
	s_and_b64 exec, exec, vcc
	s_cbranch_execz .LBB1_142
; %bb.223:                              ;   in Loop: Header=BB1_143 Depth=1
	s_mov_b64 s[16:17], 0
.LBB1_224:                              ;   Parent Loop BB1_143 Depth=1
                                        ; =>  This Inner Loop Header: Depth=2
	s_sleep 1
	global_store_dwordx2 v[14:15], v[10:11], off
	v_mov_b32_e32 v8, s4
	v_mov_b32_e32 v9, s5
	s_waitcnt vmcnt(0)
	global_atomic_cmpswap_x2 v[8:9], v3, v[8:11], s[10:11] offset:24 glc
	s_waitcnt vmcnt(0)
	v_cmp_eq_u64_e32 vcc, v[8:9], v[10:11]
	v_mov_b32_e32 v11, v9
	s_or_b64 s[16:17], vcc, s[16:17]
	v_mov_b32_e32 v10, v8
	s_andn2_b64 exec, exec, s[16:17]
	s_cbranch_execnz .LBB1_224
	s_branch .LBB1_142
.LBB1_225:
                                        ; implicit-def: $vgpr6_vgpr7
	s_cbranch_execnz .LBB1_227
	s_branch .LBB1_253
.LBB1_226:
	s_branch .LBB1_253
.LBB1_227:
	v_readfirstlane_b32 s4, v34
	v_mov_b32_e32 v10, 0
	v_mov_b32_e32 v11, 0
	v_cmp_eq_u32_e64 s[4:5], s4, v34
	s_and_saveexec_b64 s[6:7], s[4:5]
	s_cbranch_execz .LBB1_233
; %bb.228:
	v_mov_b32_e32 v2, 0
	global_load_dwordx2 v[8:9], v2, s[10:11] offset:24 glc
	s_waitcnt vmcnt(0)
	buffer_wbinvl1_vol
	global_load_dwordx2 v[6:7], v2, s[10:11] offset:40
	global_load_dwordx2 v[10:11], v2, s[10:11]
	s_waitcnt vmcnt(1)
	v_and_b32_e32 v3, v6, v8
	v_and_b32_e32 v6, v7, v9
	v_mul_lo_u32 v6, v6, 24
	v_mul_hi_u32 v7, v3, 24
	v_mul_lo_u32 v3, v3, 24
	v_add_u32_e32 v7, v7, v6
	s_waitcnt vmcnt(0)
	v_add_co_u32_e32 v6, vcc, v10, v3
	v_addc_co_u32_e32 v7, vcc, v11, v7, vcc
	global_load_dwordx2 v[6:7], v[6:7], off glc
	s_waitcnt vmcnt(0)
	global_atomic_cmpswap_x2 v[10:11], v2, v[6:9], s[10:11] offset:24 glc
	s_waitcnt vmcnt(0)
	buffer_wbinvl1_vol
	v_cmp_ne_u64_e32 vcc, v[10:11], v[8:9]
	s_and_saveexec_b64 s[12:13], vcc
	s_cbranch_execz .LBB1_232
; %bb.229:
	s_mov_b64 s[14:15], 0
.LBB1_230:                              ; =>This Inner Loop Header: Depth=1
	s_sleep 1
	global_load_dwordx2 v[6:7], v2, s[10:11] offset:40
	global_load_dwordx2 v[12:13], v2, s[10:11]
	v_mov_b32_e32 v8, v10
	v_mov_b32_e32 v9, v11
	s_waitcnt vmcnt(1)
	v_and_b32_e32 v3, v6, v8
	s_waitcnt vmcnt(0)
	v_mad_u64_u32 v[10:11], s[16:17], v3, 24, v[12:13]
	v_and_b32_e32 v6, v7, v9
	v_mov_b32_e32 v3, v11
	v_mad_u64_u32 v[6:7], s[16:17], v6, 24, v[3:4]
	v_mov_b32_e32 v11, v6
	global_load_dwordx2 v[6:7], v[10:11], off glc
	s_waitcnt vmcnt(0)
	global_atomic_cmpswap_x2 v[10:11], v2, v[6:9], s[10:11] offset:24 glc
	s_waitcnt vmcnt(0)
	buffer_wbinvl1_vol
	v_cmp_eq_u64_e32 vcc, v[10:11], v[8:9]
	s_or_b64 s[14:15], vcc, s[14:15]
	s_andn2_b64 exec, exec, s[14:15]
	s_cbranch_execnz .LBB1_230
; %bb.231:
	s_or_b64 exec, exec, s[14:15]
.LBB1_232:
	s_or_b64 exec, exec, s[12:13]
.LBB1_233:
	s_or_b64 exec, exec, s[6:7]
	v_mov_b32_e32 v2, 0
	global_load_dwordx2 v[12:13], v2, s[10:11] offset:40
	global_load_dwordx4 v[6:9], v2, s[10:11]
	v_readfirstlane_b32 s7, v11
	v_readfirstlane_b32 s6, v10
	s_mov_b64 s[12:13], exec
	s_waitcnt vmcnt(1)
	v_readfirstlane_b32 s14, v12
	v_readfirstlane_b32 s15, v13
	s_and_b64 s[14:15], s[14:15], s[6:7]
	s_mul_i32 s16, s15, 24
	s_mul_hi_u32 s17, s14, 24
	s_mul_i32 s18, s14, 24
	s_add_i32 s16, s17, s16
	v_mov_b32_e32 v3, s16
	s_waitcnt vmcnt(0)
	v_add_co_u32_e32 v10, vcc, s18, v6
	v_addc_co_u32_e32 v11, vcc, v7, v3, vcc
	s_and_saveexec_b64 s[16:17], s[4:5]
	s_cbranch_execz .LBB1_235
; %bb.234:
	v_mov_b32_e32 v12, s12
	v_mov_b32_e32 v13, s13
	v_mov_b32_e32 v14, 2
	v_mov_b32_e32 v15, 1
	global_store_dwordx4 v[10:11], v[12:15], off offset:8
.LBB1_235:
	s_or_b64 exec, exec, s[16:17]
	s_lshl_b64 s[12:13], s[14:15], 12
	v_mov_b32_e32 v3, s13
	v_add_co_u32_e32 v12, vcc, s12, v8
	v_addc_co_u32_e32 v13, vcc, v9, v3, vcc
	s_movk_i32 s12, 0xff1f
	v_and_or_b32 v0, v0, s12, 32
	s_mov_b32 s12, 0
	v_mov_b32_e32 v3, v2
	v_readfirstlane_b32 s16, v12
	v_readfirstlane_b32 s17, v13
	v_add_co_u32_e32 v8, vcc, v12, v35
	s_mov_b32 s13, s12
	s_mov_b32 s14, s12
	;; [unrolled: 1-line block ×3, first 2 shown]
	s_nop 0
	global_store_dwordx4 v35, v[0:3], s[16:17]
	v_addc_co_u32_e32 v9, vcc, 0, v13, vcc
	v_mov_b32_e32 v0, s12
	v_mov_b32_e32 v1, s13
	;; [unrolled: 1-line block ×4, first 2 shown]
	global_store_dwordx4 v35, v[0:3], s[16:17] offset:16
	global_store_dwordx4 v35, v[0:3], s[16:17] offset:32
	;; [unrolled: 1-line block ×3, first 2 shown]
	s_and_saveexec_b64 s[12:13], s[4:5]
	s_cbranch_execz .LBB1_243
; %bb.236:
	v_mov_b32_e32 v12, 0
	global_load_dwordx2 v[15:16], v12, s[10:11] offset:32 glc
	global_load_dwordx2 v[0:1], v12, s[10:11] offset:40
	v_mov_b32_e32 v13, s6
	v_mov_b32_e32 v14, s7
	s_waitcnt vmcnt(0)
	v_readfirstlane_b32 s14, v0
	v_readfirstlane_b32 s15, v1
	s_and_b64 s[14:15], s[14:15], s[6:7]
	s_mul_i32 s15, s15, 24
	s_mul_hi_u32 s16, s14, 24
	s_mul_i32 s14, s14, 24
	s_add_i32 s15, s16, s15
	v_mov_b32_e32 v0, s15
	v_add_co_u32_e32 v6, vcc, s14, v6
	v_addc_co_u32_e32 v7, vcc, v7, v0, vcc
	global_store_dwordx2 v[6:7], v[15:16], off
	s_waitcnt vmcnt(0)
	global_atomic_cmpswap_x2 v[2:3], v12, v[13:16], s[10:11] offset:32 glc
	s_waitcnt vmcnt(0)
	v_cmp_ne_u64_e32 vcc, v[2:3], v[15:16]
	s_and_saveexec_b64 s[14:15], vcc
	s_cbranch_execz .LBB1_239
; %bb.237:
	s_mov_b64 s[16:17], 0
.LBB1_238:                              ; =>This Inner Loop Header: Depth=1
	s_sleep 1
	global_store_dwordx2 v[6:7], v[2:3], off
	v_mov_b32_e32 v0, s6
	v_mov_b32_e32 v1, s7
	s_waitcnt vmcnt(0)
	global_atomic_cmpswap_x2 v[0:1], v12, v[0:3], s[10:11] offset:32 glc
	s_waitcnt vmcnt(0)
	v_cmp_eq_u64_e32 vcc, v[0:1], v[2:3]
	v_mov_b32_e32 v3, v1
	s_or_b64 s[16:17], vcc, s[16:17]
	v_mov_b32_e32 v2, v0
	s_andn2_b64 exec, exec, s[16:17]
	s_cbranch_execnz .LBB1_238
.LBB1_239:
	s_or_b64 exec, exec, s[14:15]
	v_mov_b32_e32 v3, 0
	global_load_dwordx2 v[0:1], v3, s[10:11] offset:16
	s_mov_b64 s[14:15], exec
	v_mbcnt_lo_u32_b32 v2, s14, 0
	v_mbcnt_hi_u32_b32 v2, s15, v2
	v_cmp_eq_u32_e32 vcc, 0, v2
	s_and_saveexec_b64 s[16:17], vcc
	s_cbranch_execz .LBB1_241
; %bb.240:
	s_bcnt1_i32_b64 s14, s[14:15]
	v_mov_b32_e32 v2, s14
	s_waitcnt vmcnt(0)
	global_atomic_add_x2 v[0:1], v[2:3], off offset:8
.LBB1_241:
	s_or_b64 exec, exec, s[16:17]
	s_waitcnt vmcnt(0)
	global_load_dwordx2 v[2:3], v[0:1], off offset:16
	s_waitcnt vmcnt(0)
	v_cmp_eq_u64_e32 vcc, 0, v[2:3]
	s_cbranch_vccnz .LBB1_243
; %bb.242:
	global_load_dword v0, v[0:1], off offset:24
	v_mov_b32_e32 v1, 0
	s_waitcnt vmcnt(0)
	v_readfirstlane_b32 s14, v0
	s_and_b32 m0, s14, 0xffffff
	global_store_dwordx2 v[2:3], v[0:1], off
	s_sendmsg sendmsg(MSG_INTERRUPT)
.LBB1_243:
	s_or_b64 exec, exec, s[12:13]
	s_branch .LBB1_247
.LBB1_244:                              ;   in Loop: Header=BB1_247 Depth=1
	s_or_b64 exec, exec, s[12:13]
	v_readfirstlane_b32 s12, v0
	s_cmp_eq_u32 s12, 0
	s_cbranch_scc1 .LBB1_246
; %bb.245:                              ;   in Loop: Header=BB1_247 Depth=1
	s_sleep 1
	s_cbranch_execnz .LBB1_247
	s_branch .LBB1_249
.LBB1_246:
	s_branch .LBB1_249
.LBB1_247:                              ; =>This Inner Loop Header: Depth=1
	v_mov_b32_e32 v0, 1
	s_and_saveexec_b64 s[12:13], s[4:5]
	s_cbranch_execz .LBB1_244
; %bb.248:                              ;   in Loop: Header=BB1_247 Depth=1
	global_load_dword v0, v[10:11], off offset:20 glc
	s_waitcnt vmcnt(0)
	buffer_wbinvl1_vol
	v_and_b32_e32 v0, 1, v0
	s_branch .LBB1_244
.LBB1_249:
	global_load_dwordx2 v[6:7], v[8:9], off
	s_and_saveexec_b64 s[12:13], s[4:5]
	s_cbranch_execz .LBB1_252
; %bb.250:
	v_mov_b32_e32 v10, 0
	global_load_dwordx2 v[0:1], v10, s[10:11] offset:40
	global_load_dwordx2 v[13:14], v10, s[10:11] offset:24 glc
	global_load_dwordx2 v[2:3], v10, s[10:11]
	s_waitcnt vmcnt(2)
	v_readfirstlane_b32 s14, v0
	v_readfirstlane_b32 s15, v1
	s_add_u32 s16, s14, 1
	s_addc_u32 s17, s15, 0
	s_add_u32 s4, s16, s6
	s_addc_u32 s5, s17, s7
	s_cmp_eq_u64 s[4:5], 0
	s_cselect_b32 s5, s17, s5
	s_cselect_b32 s4, s16, s4
	s_and_b64 s[6:7], s[4:5], s[14:15]
	s_mul_i32 s7, s7, 24
	s_mul_hi_u32 s14, s6, 24
	s_mul_i32 s6, s6, 24
	s_add_i32 s7, s14, s7
	v_mov_b32_e32 v0, s7
	s_waitcnt vmcnt(0)
	v_add_co_u32_e32 v8, vcc, s6, v2
	v_addc_co_u32_e32 v9, vcc, v3, v0, vcc
	v_mov_b32_e32 v11, s4
	global_store_dwordx2 v[8:9], v[13:14], off
	v_mov_b32_e32 v12, s5
	s_waitcnt vmcnt(0)
	global_atomic_cmpswap_x2 v[2:3], v10, v[11:14], s[10:11] offset:24 glc
	s_mov_b64 s[6:7], 0
	s_waitcnt vmcnt(0)
	v_cmp_ne_u64_e32 vcc, v[2:3], v[13:14]
	s_and_b64 exec, exec, vcc
	s_cbranch_execz .LBB1_252
.LBB1_251:                              ; =>This Inner Loop Header: Depth=1
	s_sleep 1
	global_store_dwordx2 v[8:9], v[2:3], off
	v_mov_b32_e32 v0, s4
	v_mov_b32_e32 v1, s5
	s_waitcnt vmcnt(0)
	global_atomic_cmpswap_x2 v[0:1], v10, v[0:3], s[10:11] offset:24 glc
	s_waitcnt vmcnt(0)
	v_cmp_eq_u64_e32 vcc, v[0:1], v[2:3]
	v_mov_b32_e32 v3, v1
	s_or_b64 s[6:7], vcc, s[6:7]
	v_mov_b32_e32 v2, v0
	s_andn2_b64 exec, exec, s[6:7]
	s_cbranch_execnz .LBB1_251
.LBB1_252:
	s_or_b64 exec, exec, s[12:13]
.LBB1_253:
	v_readfirstlane_b32 s4, v34
	v_mov_b32_e32 v10, 0
	v_mov_b32_e32 v11, 0
	v_cmp_eq_u32_e64 s[4:5], s4, v34
	s_and_saveexec_b64 s[6:7], s[4:5]
	s_cbranch_execz .LBB1_259
; %bb.254:
	s_waitcnt vmcnt(0)
	v_mov_b32_e32 v0, 0
	global_load_dwordx2 v[12:13], v0, s[10:11] offset:24 glc
	s_waitcnt vmcnt(0)
	buffer_wbinvl1_vol
	global_load_dwordx2 v[1:2], v0, s[10:11] offset:40
	global_load_dwordx2 v[8:9], v0, s[10:11]
	s_waitcnt vmcnt(1)
	v_and_b32_e32 v1, v1, v12
	v_and_b32_e32 v2, v2, v13
	v_mul_lo_u32 v2, v2, 24
	v_mul_hi_u32 v3, v1, 24
	v_mul_lo_u32 v1, v1, 24
	v_add_u32_e32 v2, v3, v2
	s_waitcnt vmcnt(0)
	v_add_co_u32_e32 v1, vcc, v8, v1
	v_addc_co_u32_e32 v2, vcc, v9, v2, vcc
	global_load_dwordx2 v[10:11], v[1:2], off glc
	s_waitcnt vmcnt(0)
	global_atomic_cmpswap_x2 v[10:11], v0, v[10:13], s[10:11] offset:24 glc
	s_waitcnt vmcnt(0)
	buffer_wbinvl1_vol
	v_cmp_ne_u64_e32 vcc, v[10:11], v[12:13]
	s_and_saveexec_b64 s[12:13], vcc
	s_cbranch_execz .LBB1_258
; %bb.255:
	s_mov_b64 s[14:15], 0
.LBB1_256:                              ; =>This Inner Loop Header: Depth=1
	s_sleep 1
	global_load_dwordx2 v[1:2], v0, s[10:11] offset:40
	global_load_dwordx2 v[8:9], v0, s[10:11]
	v_mov_b32_e32 v13, v11
	v_mov_b32_e32 v12, v10
	s_waitcnt vmcnt(1)
	v_and_b32_e32 v1, v1, v12
	s_waitcnt vmcnt(0)
	v_mad_u64_u32 v[8:9], s[16:17], v1, 24, v[8:9]
	v_and_b32_e32 v2, v2, v13
	v_mov_b32_e32 v1, v9
	v_mad_u64_u32 v[1:2], s[16:17], v2, 24, v[1:2]
	v_mov_b32_e32 v9, v1
	global_load_dwordx2 v[10:11], v[8:9], off glc
	s_waitcnt vmcnt(0)
	global_atomic_cmpswap_x2 v[10:11], v0, v[10:13], s[10:11] offset:24 glc
	s_waitcnt vmcnt(0)
	buffer_wbinvl1_vol
	v_cmp_eq_u64_e32 vcc, v[10:11], v[12:13]
	s_or_b64 s[14:15], vcc, s[14:15]
	s_andn2_b64 exec, exec, s[14:15]
	s_cbranch_execnz .LBB1_256
; %bb.257:
	s_or_b64 exec, exec, s[14:15]
.LBB1_258:
	s_or_b64 exec, exec, s[12:13]
.LBB1_259:
	s_or_b64 exec, exec, s[6:7]
	v_mov_b32_e32 v9, 0
	global_load_dwordx2 v[12:13], v9, s[10:11] offset:40
	global_load_dwordx4 v[0:3], v9, s[10:11]
	v_readfirstlane_b32 s7, v11
	v_readfirstlane_b32 s6, v10
	s_mov_b64 s[12:13], exec
	s_waitcnt vmcnt(1)
	v_readfirstlane_b32 s14, v12
	v_readfirstlane_b32 s15, v13
	s_and_b64 s[14:15], s[14:15], s[6:7]
	s_mul_i32 s16, s15, 24
	s_mul_hi_u32 s17, s14, 24
	s_mul_i32 s18, s14, 24
	s_add_i32 s16, s17, s16
	v_mov_b32_e32 v8, s16
	s_waitcnt vmcnt(0)
	v_add_co_u32_e32 v10, vcc, s18, v0
	v_addc_co_u32_e32 v11, vcc, v1, v8, vcc
	s_and_saveexec_b64 s[16:17], s[4:5]
	s_cbranch_execz .LBB1_261
; %bb.260:
	v_mov_b32_e32 v12, s12
	v_mov_b32_e32 v13, s13
	v_mov_b32_e32 v14, 2
	v_mov_b32_e32 v15, 1
	global_store_dwordx4 v[10:11], v[12:15], off offset:8
.LBB1_261:
	s_or_b64 exec, exec, s[16:17]
	s_lshl_b64 s[12:13], s[14:15], 12
	v_mov_b32_e32 v8, s13
	v_add_co_u32_e32 v2, vcc, s12, v2
	v_addc_co_u32_e32 v3, vcc, v3, v8, vcc
	s_movk_i32 s12, 0xff1f
	v_and_or_b32 v6, v6, s12, 32
	s_mov_b32 s12, 0
	v_mov_b32_e32 v8, 0x331
	v_readfirstlane_b32 s16, v2
	v_readfirstlane_b32 s17, v3
	v_add_co_u32_e32 v12, vcc, v2, v35
	s_mov_b32 s13, s12
	s_mov_b32 s14, s12
	;; [unrolled: 1-line block ×3, first 2 shown]
	s_nop 0
	global_store_dwordx4 v35, v[6:9], s[16:17]
	v_addc_co_u32_e32 v13, vcc, 0, v3, vcc
	v_mov_b32_e32 v6, s12
	v_mov_b32_e32 v7, s13
	;; [unrolled: 1-line block ×4, first 2 shown]
	global_store_dwordx4 v35, v[6:9], s[16:17] offset:16
	global_store_dwordx4 v35, v[6:9], s[16:17] offset:32
	;; [unrolled: 1-line block ×3, first 2 shown]
	s_and_saveexec_b64 s[12:13], s[4:5]
	s_cbranch_execz .LBB1_269
; %bb.262:
	v_mov_b32_e32 v8, 0
	global_load_dwordx2 v[16:17], v8, s[10:11] offset:32 glc
	global_load_dwordx2 v[2:3], v8, s[10:11] offset:40
	v_mov_b32_e32 v14, s6
	v_mov_b32_e32 v15, s7
	s_waitcnt vmcnt(0)
	v_readfirstlane_b32 s14, v2
	v_readfirstlane_b32 s15, v3
	s_and_b64 s[14:15], s[14:15], s[6:7]
	s_mul_i32 s15, s15, 24
	s_mul_hi_u32 s16, s14, 24
	s_mul_i32 s14, s14, 24
	s_add_i32 s15, s16, s15
	v_mov_b32_e32 v2, s15
	v_add_co_u32_e32 v6, vcc, s14, v0
	v_addc_co_u32_e32 v7, vcc, v1, v2, vcc
	global_store_dwordx2 v[6:7], v[16:17], off
	s_waitcnt vmcnt(0)
	global_atomic_cmpswap_x2 v[2:3], v8, v[14:17], s[10:11] offset:32 glc
	s_waitcnt vmcnt(0)
	v_cmp_ne_u64_e32 vcc, v[2:3], v[16:17]
	s_and_saveexec_b64 s[14:15], vcc
	s_cbranch_execz .LBB1_265
; %bb.263:
	s_mov_b64 s[16:17], 0
.LBB1_264:                              ; =>This Inner Loop Header: Depth=1
	s_sleep 1
	global_store_dwordx2 v[6:7], v[2:3], off
	v_mov_b32_e32 v0, s6
	v_mov_b32_e32 v1, s7
	s_waitcnt vmcnt(0)
	global_atomic_cmpswap_x2 v[0:1], v8, v[0:3], s[10:11] offset:32 glc
	s_waitcnt vmcnt(0)
	v_cmp_eq_u64_e32 vcc, v[0:1], v[2:3]
	v_mov_b32_e32 v3, v1
	s_or_b64 s[16:17], vcc, s[16:17]
	v_mov_b32_e32 v2, v0
	s_andn2_b64 exec, exec, s[16:17]
	s_cbranch_execnz .LBB1_264
.LBB1_265:
	s_or_b64 exec, exec, s[14:15]
	v_mov_b32_e32 v3, 0
	global_load_dwordx2 v[0:1], v3, s[10:11] offset:16
	s_mov_b64 s[14:15], exec
	v_mbcnt_lo_u32_b32 v2, s14, 0
	v_mbcnt_hi_u32_b32 v2, s15, v2
	v_cmp_eq_u32_e32 vcc, 0, v2
	s_and_saveexec_b64 s[16:17], vcc
	s_cbranch_execz .LBB1_267
; %bb.266:
	s_bcnt1_i32_b64 s14, s[14:15]
	v_mov_b32_e32 v2, s14
	s_waitcnt vmcnt(0)
	global_atomic_add_x2 v[0:1], v[2:3], off offset:8
.LBB1_267:
	s_or_b64 exec, exec, s[16:17]
	s_waitcnt vmcnt(0)
	global_load_dwordx2 v[2:3], v[0:1], off offset:16
	s_waitcnt vmcnt(0)
	v_cmp_eq_u64_e32 vcc, 0, v[2:3]
	s_cbranch_vccnz .LBB1_269
; %bb.268:
	global_load_dword v0, v[0:1], off offset:24
	v_mov_b32_e32 v1, 0
	s_waitcnt vmcnt(0)
	v_readfirstlane_b32 s14, v0
	s_and_b32 m0, s14, 0xffffff
	global_store_dwordx2 v[2:3], v[0:1], off
	s_sendmsg sendmsg(MSG_INTERRUPT)
.LBB1_269:
	s_or_b64 exec, exec, s[12:13]
	s_branch .LBB1_273
.LBB1_270:                              ;   in Loop: Header=BB1_273 Depth=1
	s_or_b64 exec, exec, s[12:13]
	v_readfirstlane_b32 s12, v0
	s_cmp_eq_u32 s12, 0
	s_cbranch_scc1 .LBB1_272
; %bb.271:                              ;   in Loop: Header=BB1_273 Depth=1
	s_sleep 1
	s_cbranch_execnz .LBB1_273
	s_branch .LBB1_275
.LBB1_272:
	s_branch .LBB1_275
.LBB1_273:                              ; =>This Inner Loop Header: Depth=1
	v_mov_b32_e32 v0, 1
	s_and_saveexec_b64 s[12:13], s[4:5]
	s_cbranch_execz .LBB1_270
; %bb.274:                              ;   in Loop: Header=BB1_273 Depth=1
	global_load_dword v0, v[10:11], off offset:20 glc
	s_waitcnt vmcnt(0)
	buffer_wbinvl1_vol
	v_and_b32_e32 v0, 1, v0
	s_branch .LBB1_270
.LBB1_275:
	global_load_dwordx2 v[0:1], v[12:13], off
	s_and_saveexec_b64 s[12:13], s[4:5]
	s_cbranch_execz .LBB1_278
; %bb.276:
	v_mov_b32_e32 v10, 0
	global_load_dwordx2 v[2:3], v10, s[10:11] offset:40
	global_load_dwordx2 v[13:14], v10, s[10:11] offset:24 glc
	global_load_dwordx2 v[6:7], v10, s[10:11]
	s_waitcnt vmcnt(2)
	v_readfirstlane_b32 s14, v2
	v_readfirstlane_b32 s15, v3
	s_add_u32 s16, s14, 1
	s_addc_u32 s17, s15, 0
	s_add_u32 s4, s16, s6
	s_addc_u32 s5, s17, s7
	s_cmp_eq_u64 s[4:5], 0
	s_cselect_b32 s5, s17, s5
	s_cselect_b32 s4, s16, s4
	s_and_b64 s[6:7], s[4:5], s[14:15]
	s_mul_i32 s7, s7, 24
	s_mul_hi_u32 s14, s6, 24
	s_mul_i32 s6, s6, 24
	s_add_i32 s7, s14, s7
	v_mov_b32_e32 v3, s7
	s_waitcnt vmcnt(0)
	v_add_co_u32_e32 v2, vcc, s6, v6
	v_addc_co_u32_e32 v3, vcc, v7, v3, vcc
	v_mov_b32_e32 v11, s4
	global_store_dwordx2 v[2:3], v[13:14], off
	v_mov_b32_e32 v12, s5
	s_waitcnt vmcnt(0)
	global_atomic_cmpswap_x2 v[8:9], v10, v[11:14], s[10:11] offset:24 glc
	s_mov_b64 s[6:7], 0
	s_waitcnt vmcnt(0)
	v_cmp_ne_u64_e32 vcc, v[8:9], v[13:14]
	s_and_b64 exec, exec, vcc
	s_cbranch_execz .LBB1_278
.LBB1_277:                              ; =>This Inner Loop Header: Depth=1
	s_sleep 1
	global_store_dwordx2 v[2:3], v[8:9], off
	v_mov_b32_e32 v6, s4
	v_mov_b32_e32 v7, s5
	s_waitcnt vmcnt(0)
	global_atomic_cmpswap_x2 v[6:7], v10, v[6:9], s[10:11] offset:24 glc
	s_waitcnt vmcnt(0)
	v_cmp_eq_u64_e32 vcc, v[6:7], v[8:9]
	v_mov_b32_e32 v9, v7
	s_or_b64 s[6:7], vcc, s[6:7]
	v_mov_b32_e32 v8, v6
	s_andn2_b64 exec, exec, s[6:7]
	s_cbranch_execnz .LBB1_277
.LBB1_278:
	s_or_b64 exec, exec, s[12:13]
	v_mov_b32_e32 v7, v5
	s_mov_b64 s[4:5], 0
	v_mov_b32_e32 v6, v4
.LBB1_279:                              ; =>This Inner Loop Header: Depth=1
	global_load_ubyte v8, v[6:7], off
	v_add_co_u32_e32 v2, vcc, 1, v6
	v_addc_co_u32_e32 v3, vcc, 0, v7, vcc
	v_mov_b32_e32 v7, v3
	v_mov_b32_e32 v6, v2
	s_waitcnt vmcnt(0)
	v_cmp_eq_u16_e32 vcc, 0, v8
	s_or_b64 s[4:5], vcc, s[4:5]
	s_andn2_b64 exec, exec, s[4:5]
	s_cbranch_execnz .LBB1_279
; %bb.280:
	s_or_b64 exec, exec, s[4:5]
	v_cmp_ne_u64_e32 vcc, 0, v[4:5]
	s_mov_b64 s[12:13], 0
	s_and_saveexec_b64 s[4:5], vcc
	s_xor_b64 s[6:7], exec, s[4:5]
	s_cbranch_execz .LBB1_366
; %bb.281:
	v_sub_u32_e32 v26, v2, v4
	v_ashrrev_i32_e32 v27, 31, v26
	v_and_b32_e32 v36, 2, v0
	v_mov_b32_e32 v29, 0
	v_and_b32_e32 v0, -3, v0
	s_mov_b32 s22, 0
	s_movk_i32 s23, 0x1e0
	v_mov_b32_e32 v8, 2
	v_mov_b32_e32 v9, 1
	s_branch .LBB1_283
.LBB1_282:                              ;   in Loop: Header=BB1_283 Depth=1
	s_or_b64 exec, exec, s[16:17]
	v_sub_co_u32_e32 v26, vcc, v26, v30
	v_subb_co_u32_e32 v27, vcc, v27, v31, vcc
	v_cmp_eq_u64_e32 vcc, 0, v[26:27]
	s_or_b64 s[12:13], vcc, s[12:13]
	v_add_co_u32_e32 v4, vcc, v4, v30
	v_addc_co_u32_e32 v5, vcc, v5, v31, vcc
	s_andn2_b64 exec, exec, s[12:13]
	s_cbranch_execz .LBB1_365
.LBB1_283:                              ; =>This Loop Header: Depth=1
                                        ;     Child Loop BB1_286 Depth 2
                                        ;     Child Loop BB1_294 Depth 2
	;; [unrolled: 1-line block ×11, first 2 shown]
	v_cmp_gt_u64_e32 vcc, 56, v[26:27]
	v_add_co_u32_e64 v12, s[4:5], 8, v4
	v_cndmask_b32_e32 v31, 0, v27, vcc
	v_cndmask_b32_e32 v30, 56, v26, vcc
	v_cmp_gt_u64_e32 vcc, 8, v[26:27]
	v_addc_co_u32_e64 v13, s[4:5], 0, v5, s[4:5]
	s_and_saveexec_b64 s[4:5], vcc
	s_xor_b64 s[4:5], exec, s[4:5]
	s_cbranch_execz .LBB1_289
; %bb.284:                              ;   in Loop: Header=BB1_283 Depth=1
	v_mov_b32_e32 v2, 0
	v_cmp_ne_u64_e32 vcc, 0, v[26:27]
	v_mov_b32_e32 v3, 0
	s_and_saveexec_b64 s[14:15], vcc
	s_cbranch_execz .LBB1_288
; %bb.285:                              ;   in Loop: Header=BB1_283 Depth=1
	v_lshlrev_b64 v[6:7], 3, v[30:31]
	v_mov_b32_e32 v2, 0
	v_mov_b32_e32 v11, v5
	s_mov_b64 s[16:17], 0
	v_mov_b32_e32 v3, 0
	v_mov_b32_e32 v10, v4
	s_mov_b64 s[18:19], 0
.LBB1_286:                              ;   Parent Loop BB1_283 Depth=1
                                        ; =>  This Inner Loop Header: Depth=2
	global_load_ubyte v7, v[10:11], off
	v_mov_b32_e32 v13, s22
	v_add_co_u32_e32 v10, vcc, 1, v10
	v_addc_co_u32_e32 v11, vcc, 0, v11, vcc
	s_waitcnt vmcnt(0)
	v_and_b32_e32 v12, 0xffff, v7
	v_lshlrev_b64 v[12:13], s18, v[12:13]
	s_add_u32 s18, s18, 8
	s_addc_u32 s19, s19, 0
	v_cmp_eq_u32_e32 vcc, s18, v6
	v_or_b32_e32 v3, v13, v3
	s_or_b64 s[16:17], vcc, s[16:17]
	v_or_b32_e32 v2, v12, v2
	s_andn2_b64 exec, exec, s[16:17]
	s_cbranch_execnz .LBB1_286
; %bb.287:                              ;   in Loop: Header=BB1_283 Depth=1
	s_or_b64 exec, exec, s[16:17]
.LBB1_288:                              ;   in Loop: Header=BB1_283 Depth=1
	s_or_b64 exec, exec, s[14:15]
	v_mov_b32_e32 v13, v5
	v_mov_b32_e32 v12, v4
.LBB1_289:                              ;   in Loop: Header=BB1_283 Depth=1
	s_or_saveexec_b64 s[4:5], s[4:5]
	v_mov_b32_e32 v14, 0
	s_xor_b64 exec, exec, s[4:5]
	s_cbranch_execz .LBB1_291
; %bb.290:                              ;   in Loop: Header=BB1_283 Depth=1
	global_load_dwordx2 v[2:3], v[4:5], off
	v_add_u32_e32 v14, -8, v30
.LBB1_291:                              ;   in Loop: Header=BB1_283 Depth=1
	s_or_b64 exec, exec, s[4:5]
	v_add_co_u32_e64 v6, s[4:5], 8, v12
	v_cmp_gt_u32_e32 vcc, 8, v14
	v_addc_co_u32_e64 v7, s[4:5], 0, v13, s[4:5]
                                        ; implicit-def: $vgpr10_vgpr11
	s_and_saveexec_b64 s[4:5], vcc
	s_xor_b64 s[4:5], exec, s[4:5]
	s_cbranch_execz .LBB1_297
; %bb.292:                              ;   in Loop: Header=BB1_283 Depth=1
	v_mov_b32_e32 v10, 0
	v_mov_b32_e32 v11, 0
	v_cmp_ne_u32_e32 vcc, 0, v14
	s_and_saveexec_b64 s[14:15], vcc
	s_cbranch_execz .LBB1_296
; %bb.293:                              ;   in Loop: Header=BB1_283 Depth=1
	v_mov_b32_e32 v10, 0
	s_mov_b64 s[16:17], 0
	v_mov_b32_e32 v11, 0
	s_mov_b64 s[18:19], 0
	s_mov_b64 s[20:21], 0
.LBB1_294:                              ;   Parent Loop BB1_283 Depth=1
                                        ; =>  This Inner Loop Header: Depth=2
	v_mov_b32_e32 v7, s21
	v_add_co_u32_e32 v6, vcc, s20, v12
	v_addc_co_u32_e32 v7, vcc, v13, v7, vcc
	global_load_ubyte v6, v[6:7], off
	s_add_u32 s20, s20, 1
	v_mov_b32_e32 v7, s22
	s_addc_u32 s21, s21, 0
	v_cmp_eq_u32_e32 vcc, s20, v14
	s_waitcnt vmcnt(0)
	v_and_b32_e32 v6, 0xffff, v6
	v_lshlrev_b64 v[6:7], s18, v[6:7]
	s_add_u32 s18, s18, 8
	s_addc_u32 s19, s19, 0
	v_or_b32_e32 v11, v7, v11
	s_or_b64 s[16:17], vcc, s[16:17]
	v_or_b32_e32 v10, v6, v10
	s_andn2_b64 exec, exec, s[16:17]
	s_cbranch_execnz .LBB1_294
; %bb.295:                              ;   in Loop: Header=BB1_283 Depth=1
	s_or_b64 exec, exec, s[16:17]
.LBB1_296:                              ;   in Loop: Header=BB1_283 Depth=1
	s_or_b64 exec, exec, s[14:15]
	v_mov_b32_e32 v6, v12
	v_mov_b32_e32 v7, v13
                                        ; implicit-def: $vgpr14
.LBB1_297:                              ;   in Loop: Header=BB1_283 Depth=1
	s_or_saveexec_b64 s[4:5], s[4:5]
	v_mov_b32_e32 v15, 0
	s_xor_b64 exec, exec, s[4:5]
	s_cbranch_execz .LBB1_299
; %bb.298:                              ;   in Loop: Header=BB1_283 Depth=1
	global_load_dwordx2 v[10:11], v[12:13], off
	v_add_u32_e32 v15, -8, v14
.LBB1_299:                              ;   in Loop: Header=BB1_283 Depth=1
	s_or_b64 exec, exec, s[4:5]
	v_add_co_u32_e64 v16, s[4:5], 8, v6
	v_cmp_gt_u32_e32 vcc, 8, v15
	v_addc_co_u32_e64 v17, s[4:5], 0, v7, s[4:5]
	s_and_saveexec_b64 s[4:5], vcc
	s_xor_b64 s[4:5], exec, s[4:5]
	s_cbranch_execz .LBB1_305
; %bb.300:                              ;   in Loop: Header=BB1_283 Depth=1
	v_mov_b32_e32 v12, 0
	v_mov_b32_e32 v13, 0
	v_cmp_ne_u32_e32 vcc, 0, v15
	s_and_saveexec_b64 s[14:15], vcc
	s_cbranch_execz .LBB1_304
; %bb.301:                              ;   in Loop: Header=BB1_283 Depth=1
	v_mov_b32_e32 v12, 0
	s_mov_b64 s[16:17], 0
	v_mov_b32_e32 v13, 0
	s_mov_b64 s[18:19], 0
	s_mov_b64 s[20:21], 0
.LBB1_302:                              ;   Parent Loop BB1_283 Depth=1
                                        ; =>  This Inner Loop Header: Depth=2
	v_mov_b32_e32 v14, s21
	v_add_co_u32_e32 v16, vcc, s20, v6
	v_addc_co_u32_e32 v17, vcc, v7, v14, vcc
	global_load_ubyte v14, v[16:17], off
	s_add_u32 s20, s20, 1
	v_mov_b32_e32 v17, s22
	s_addc_u32 s21, s21, 0
	v_cmp_eq_u32_e32 vcc, s20, v15
	s_waitcnt vmcnt(0)
	v_and_b32_e32 v16, 0xffff, v14
	v_lshlrev_b64 v[16:17], s18, v[16:17]
	s_add_u32 s18, s18, 8
	s_addc_u32 s19, s19, 0
	v_or_b32_e32 v13, v17, v13
	s_or_b64 s[16:17], vcc, s[16:17]
	v_or_b32_e32 v12, v16, v12
	s_andn2_b64 exec, exec, s[16:17]
	s_cbranch_execnz .LBB1_302
; %bb.303:                              ;   in Loop: Header=BB1_283 Depth=1
	s_or_b64 exec, exec, s[16:17]
.LBB1_304:                              ;   in Loop: Header=BB1_283 Depth=1
	s_or_b64 exec, exec, s[14:15]
	v_mov_b32_e32 v17, v7
	v_mov_b32_e32 v16, v6
                                        ; implicit-def: $vgpr15
.LBB1_305:                              ;   in Loop: Header=BB1_283 Depth=1
	s_or_saveexec_b64 s[4:5], s[4:5]
	v_mov_b32_e32 v18, 0
	s_xor_b64 exec, exec, s[4:5]
	s_cbranch_execz .LBB1_307
; %bb.306:                              ;   in Loop: Header=BB1_283 Depth=1
	global_load_dwordx2 v[12:13], v[6:7], off
	v_add_u32_e32 v18, -8, v15
.LBB1_307:                              ;   in Loop: Header=BB1_283 Depth=1
	s_or_b64 exec, exec, s[4:5]
	v_add_co_u32_e64 v6, s[4:5], 8, v16
	v_cmp_gt_u32_e32 vcc, 8, v18
	v_addc_co_u32_e64 v7, s[4:5], 0, v17, s[4:5]
                                        ; implicit-def: $vgpr14_vgpr15
	s_and_saveexec_b64 s[4:5], vcc
	s_xor_b64 s[4:5], exec, s[4:5]
	s_cbranch_execz .LBB1_313
; %bb.308:                              ;   in Loop: Header=BB1_283 Depth=1
	v_mov_b32_e32 v14, 0
	v_mov_b32_e32 v15, 0
	v_cmp_ne_u32_e32 vcc, 0, v18
	s_and_saveexec_b64 s[14:15], vcc
	s_cbranch_execz .LBB1_312
; %bb.309:                              ;   in Loop: Header=BB1_283 Depth=1
	v_mov_b32_e32 v14, 0
	s_mov_b64 s[16:17], 0
	v_mov_b32_e32 v15, 0
	s_mov_b64 s[18:19], 0
	s_mov_b64 s[20:21], 0
.LBB1_310:                              ;   Parent Loop BB1_283 Depth=1
                                        ; =>  This Inner Loop Header: Depth=2
	v_mov_b32_e32 v7, s21
	v_add_co_u32_e32 v6, vcc, s20, v16
	v_addc_co_u32_e32 v7, vcc, v17, v7, vcc
	global_load_ubyte v6, v[6:7], off
	s_add_u32 s20, s20, 1
	v_mov_b32_e32 v7, s22
	s_addc_u32 s21, s21, 0
	v_cmp_eq_u32_e32 vcc, s20, v18
	s_waitcnt vmcnt(0)
	v_and_b32_e32 v6, 0xffff, v6
	v_lshlrev_b64 v[6:7], s18, v[6:7]
	s_add_u32 s18, s18, 8
	s_addc_u32 s19, s19, 0
	v_or_b32_e32 v15, v7, v15
	s_or_b64 s[16:17], vcc, s[16:17]
	v_or_b32_e32 v14, v6, v14
	s_andn2_b64 exec, exec, s[16:17]
	s_cbranch_execnz .LBB1_310
; %bb.311:                              ;   in Loop: Header=BB1_283 Depth=1
	s_or_b64 exec, exec, s[16:17]
.LBB1_312:                              ;   in Loop: Header=BB1_283 Depth=1
	s_or_b64 exec, exec, s[14:15]
	v_mov_b32_e32 v6, v16
	v_mov_b32_e32 v7, v17
                                        ; implicit-def: $vgpr18
.LBB1_313:                              ;   in Loop: Header=BB1_283 Depth=1
	s_or_saveexec_b64 s[4:5], s[4:5]
	v_mov_b32_e32 v19, 0
	s_xor_b64 exec, exec, s[4:5]
	s_cbranch_execz .LBB1_315
; %bb.314:                              ;   in Loop: Header=BB1_283 Depth=1
	global_load_dwordx2 v[14:15], v[16:17], off
	v_add_u32_e32 v19, -8, v18
.LBB1_315:                              ;   in Loop: Header=BB1_283 Depth=1
	s_or_b64 exec, exec, s[4:5]
	v_add_co_u32_e64 v20, s[4:5], 8, v6
	v_cmp_gt_u32_e32 vcc, 8, v19
	v_addc_co_u32_e64 v21, s[4:5], 0, v7, s[4:5]
	s_and_saveexec_b64 s[4:5], vcc
	s_xor_b64 s[4:5], exec, s[4:5]
	s_cbranch_execz .LBB1_321
; %bb.316:                              ;   in Loop: Header=BB1_283 Depth=1
	v_mov_b32_e32 v16, 0
	v_mov_b32_e32 v17, 0
	v_cmp_ne_u32_e32 vcc, 0, v19
	s_and_saveexec_b64 s[14:15], vcc
	s_cbranch_execz .LBB1_320
; %bb.317:                              ;   in Loop: Header=BB1_283 Depth=1
	v_mov_b32_e32 v16, 0
	s_mov_b64 s[16:17], 0
	v_mov_b32_e32 v17, 0
	s_mov_b64 s[18:19], 0
	s_mov_b64 s[20:21], 0
.LBB1_318:                              ;   Parent Loop BB1_283 Depth=1
                                        ; =>  This Inner Loop Header: Depth=2
	v_mov_b32_e32 v18, s21
	v_add_co_u32_e32 v20, vcc, s20, v6
	v_addc_co_u32_e32 v21, vcc, v7, v18, vcc
	global_load_ubyte v18, v[20:21], off
	s_add_u32 s20, s20, 1
	v_mov_b32_e32 v21, s22
	s_addc_u32 s21, s21, 0
	v_cmp_eq_u32_e32 vcc, s20, v19
	s_waitcnt vmcnt(0)
	v_and_b32_e32 v20, 0xffff, v18
	v_lshlrev_b64 v[20:21], s18, v[20:21]
	s_add_u32 s18, s18, 8
	s_addc_u32 s19, s19, 0
	v_or_b32_e32 v17, v21, v17
	s_or_b64 s[16:17], vcc, s[16:17]
	v_or_b32_e32 v16, v20, v16
	s_andn2_b64 exec, exec, s[16:17]
	s_cbranch_execnz .LBB1_318
; %bb.319:                              ;   in Loop: Header=BB1_283 Depth=1
	s_or_b64 exec, exec, s[16:17]
.LBB1_320:                              ;   in Loop: Header=BB1_283 Depth=1
	s_or_b64 exec, exec, s[14:15]
	v_mov_b32_e32 v21, v7
	v_mov_b32_e32 v20, v6
                                        ; implicit-def: $vgpr19
.LBB1_321:                              ;   in Loop: Header=BB1_283 Depth=1
	s_or_saveexec_b64 s[4:5], s[4:5]
	v_mov_b32_e32 v22, 0
	s_xor_b64 exec, exec, s[4:5]
	s_cbranch_execz .LBB1_323
; %bb.322:                              ;   in Loop: Header=BB1_283 Depth=1
	global_load_dwordx2 v[16:17], v[6:7], off
	v_add_u32_e32 v22, -8, v19
.LBB1_323:                              ;   in Loop: Header=BB1_283 Depth=1
	s_or_b64 exec, exec, s[4:5]
	v_add_co_u32_e64 v6, s[4:5], 8, v20
	v_cmp_gt_u32_e32 vcc, 8, v22
	v_addc_co_u32_e64 v7, s[4:5], 0, v21, s[4:5]
                                        ; implicit-def: $vgpr18_vgpr19
	s_and_saveexec_b64 s[4:5], vcc
	s_xor_b64 s[4:5], exec, s[4:5]
	s_cbranch_execz .LBB1_329
; %bb.324:                              ;   in Loop: Header=BB1_283 Depth=1
	v_mov_b32_e32 v18, 0
	v_mov_b32_e32 v19, 0
	v_cmp_ne_u32_e32 vcc, 0, v22
	s_and_saveexec_b64 s[14:15], vcc
	s_cbranch_execz .LBB1_328
; %bb.325:                              ;   in Loop: Header=BB1_283 Depth=1
	v_mov_b32_e32 v18, 0
	s_mov_b64 s[16:17], 0
	v_mov_b32_e32 v19, 0
	s_mov_b64 s[18:19], 0
	s_mov_b64 s[20:21], 0
.LBB1_326:                              ;   Parent Loop BB1_283 Depth=1
                                        ; =>  This Inner Loop Header: Depth=2
	v_mov_b32_e32 v7, s21
	v_add_co_u32_e32 v6, vcc, s20, v20
	v_addc_co_u32_e32 v7, vcc, v21, v7, vcc
	global_load_ubyte v6, v[6:7], off
	s_add_u32 s20, s20, 1
	v_mov_b32_e32 v7, s22
	s_addc_u32 s21, s21, 0
	v_cmp_eq_u32_e32 vcc, s20, v22
	s_waitcnt vmcnt(0)
	v_and_b32_e32 v6, 0xffff, v6
	v_lshlrev_b64 v[6:7], s18, v[6:7]
	s_add_u32 s18, s18, 8
	s_addc_u32 s19, s19, 0
	v_or_b32_e32 v19, v7, v19
	s_or_b64 s[16:17], vcc, s[16:17]
	v_or_b32_e32 v18, v6, v18
	s_andn2_b64 exec, exec, s[16:17]
	s_cbranch_execnz .LBB1_326
; %bb.327:                              ;   in Loop: Header=BB1_283 Depth=1
	s_or_b64 exec, exec, s[16:17]
.LBB1_328:                              ;   in Loop: Header=BB1_283 Depth=1
	s_or_b64 exec, exec, s[14:15]
	v_mov_b32_e32 v6, v20
	v_mov_b32_e32 v7, v21
                                        ; implicit-def: $vgpr22
.LBB1_329:                              ;   in Loop: Header=BB1_283 Depth=1
	s_or_saveexec_b64 s[4:5], s[4:5]
	v_mov_b32_e32 v23, 0
	s_xor_b64 exec, exec, s[4:5]
	s_cbranch_execz .LBB1_331
; %bb.330:                              ;   in Loop: Header=BB1_283 Depth=1
	global_load_dwordx2 v[18:19], v[20:21], off
	v_add_u32_e32 v23, -8, v22
.LBB1_331:                              ;   in Loop: Header=BB1_283 Depth=1
	s_or_b64 exec, exec, s[4:5]
	v_cmp_gt_u32_e32 vcc, 8, v23
	s_and_saveexec_b64 s[4:5], vcc
	s_xor_b64 s[4:5], exec, s[4:5]
	s_cbranch_execz .LBB1_337
; %bb.332:                              ;   in Loop: Header=BB1_283 Depth=1
	v_mov_b32_e32 v20, 0
	v_mov_b32_e32 v21, 0
	v_cmp_ne_u32_e32 vcc, 0, v23
	s_and_saveexec_b64 s[14:15], vcc
	s_cbranch_execz .LBB1_336
; %bb.333:                              ;   in Loop: Header=BB1_283 Depth=1
	v_mov_b32_e32 v20, 0
	s_mov_b64 s[16:17], 0
	v_mov_b32_e32 v21, 0
	s_mov_b64 s[18:19], 0
.LBB1_334:                              ;   Parent Loop BB1_283 Depth=1
                                        ; =>  This Inner Loop Header: Depth=2
	global_load_ubyte v22, v[6:7], off
	v_mov_b32_e32 v25, s22
	v_add_co_u32_e32 v6, vcc, 1, v6
	v_add_u32_e32 v23, -1, v23
	v_addc_co_u32_e32 v7, vcc, 0, v7, vcc
	v_cmp_eq_u32_e32 vcc, 0, v23
	s_waitcnt vmcnt(0)
	v_and_b32_e32 v24, 0xffff, v22
	v_lshlrev_b64 v[24:25], s18, v[24:25]
	s_add_u32 s18, s18, 8
	s_addc_u32 s19, s19, 0
	v_or_b32_e32 v21, v25, v21
	s_or_b64 s[16:17], vcc, s[16:17]
	v_or_b32_e32 v20, v24, v20
	s_andn2_b64 exec, exec, s[16:17]
	s_cbranch_execnz .LBB1_334
; %bb.335:                              ;   in Loop: Header=BB1_283 Depth=1
	s_or_b64 exec, exec, s[16:17]
.LBB1_336:                              ;   in Loop: Header=BB1_283 Depth=1
	s_or_b64 exec, exec, s[14:15]
                                        ; implicit-def: $vgpr6_vgpr7
.LBB1_337:                              ;   in Loop: Header=BB1_283 Depth=1
	s_andn2_saveexec_b64 s[4:5], s[4:5]
	s_cbranch_execz .LBB1_339
; %bb.338:                              ;   in Loop: Header=BB1_283 Depth=1
	global_load_dwordx2 v[20:21], v[6:7], off
.LBB1_339:                              ;   in Loop: Header=BB1_283 Depth=1
	s_or_b64 exec, exec, s[4:5]
	v_readfirstlane_b32 s4, v34
	v_mov_b32_e32 v6, 0
	v_mov_b32_e32 v7, 0
	v_cmp_eq_u32_e64 s[4:5], s4, v34
	s_and_saveexec_b64 s[14:15], s[4:5]
	s_cbranch_execz .LBB1_345
; %bb.340:                              ;   in Loop: Header=BB1_283 Depth=1
	global_load_dwordx2 v[24:25], v29, s[10:11] offset:24 glc
	s_waitcnt vmcnt(0)
	buffer_wbinvl1_vol
	global_load_dwordx2 v[6:7], v29, s[10:11] offset:40
	global_load_dwordx2 v[22:23], v29, s[10:11]
	s_waitcnt vmcnt(1)
	v_and_b32_e32 v6, v6, v24
	v_and_b32_e32 v7, v7, v25
	v_mul_lo_u32 v7, v7, 24
	v_mul_hi_u32 v28, v6, 24
	v_mul_lo_u32 v6, v6, 24
	v_add_u32_e32 v7, v28, v7
	s_waitcnt vmcnt(0)
	v_add_co_u32_e32 v6, vcc, v22, v6
	v_addc_co_u32_e32 v7, vcc, v23, v7, vcc
	global_load_dwordx2 v[22:23], v[6:7], off glc
	s_waitcnt vmcnt(0)
	global_atomic_cmpswap_x2 v[6:7], v29, v[22:25], s[10:11] offset:24 glc
	s_waitcnt vmcnt(0)
	buffer_wbinvl1_vol
	v_cmp_ne_u64_e32 vcc, v[6:7], v[24:25]
	s_and_saveexec_b64 s[16:17], vcc
	s_cbranch_execz .LBB1_344
; %bb.341:                              ;   in Loop: Header=BB1_283 Depth=1
	s_mov_b64 s[18:19], 0
.LBB1_342:                              ;   Parent Loop BB1_283 Depth=1
                                        ; =>  This Inner Loop Header: Depth=2
	s_sleep 1
	global_load_dwordx2 v[22:23], v29, s[10:11] offset:40
	global_load_dwordx2 v[32:33], v29, s[10:11]
	v_mov_b32_e32 v25, v7
	v_mov_b32_e32 v24, v6
	s_waitcnt vmcnt(1)
	v_and_b32_e32 v6, v22, v24
	s_waitcnt vmcnt(0)
	v_mad_u64_u32 v[6:7], s[20:21], v6, 24, v[32:33]
	v_and_b32_e32 v22, v23, v25
	v_mad_u64_u32 v[22:23], s[20:21], v22, 24, v[7:8]
	v_mov_b32_e32 v7, v22
	global_load_dwordx2 v[22:23], v[6:7], off glc
	s_waitcnt vmcnt(0)
	global_atomic_cmpswap_x2 v[6:7], v29, v[22:25], s[10:11] offset:24 glc
	s_waitcnt vmcnt(0)
	buffer_wbinvl1_vol
	v_cmp_eq_u64_e32 vcc, v[6:7], v[24:25]
	s_or_b64 s[18:19], vcc, s[18:19]
	s_andn2_b64 exec, exec, s[18:19]
	s_cbranch_execnz .LBB1_342
; %bb.343:                              ;   in Loop: Header=BB1_283 Depth=1
	s_or_b64 exec, exec, s[18:19]
.LBB1_344:                              ;   in Loop: Header=BB1_283 Depth=1
	s_or_b64 exec, exec, s[16:17]
.LBB1_345:                              ;   in Loop: Header=BB1_283 Depth=1
	s_or_b64 exec, exec, s[14:15]
	global_load_dwordx2 v[32:33], v29, s[10:11] offset:40
	global_load_dwordx4 v[22:25], v29, s[10:11]
	v_readfirstlane_b32 s15, v7
	v_readfirstlane_b32 s14, v6
	s_mov_b64 s[16:17], exec
	s_waitcnt vmcnt(1)
	v_readfirstlane_b32 s18, v32
	v_readfirstlane_b32 s19, v33
	s_and_b64 s[18:19], s[18:19], s[14:15]
	s_mul_i32 s20, s19, 24
	s_mul_hi_u32 s21, s18, 24
	s_mul_i32 s24, s18, 24
	s_add_i32 s20, s21, s20
	v_mov_b32_e32 v6, s20
	s_waitcnt vmcnt(0)
	v_add_co_u32_e32 v32, vcc, s24, v22
	v_addc_co_u32_e32 v33, vcc, v23, v6, vcc
	s_and_saveexec_b64 s[20:21], s[4:5]
	s_cbranch_execz .LBB1_347
; %bb.346:                              ;   in Loop: Header=BB1_283 Depth=1
	v_mov_b32_e32 v6, s16
	v_mov_b32_e32 v7, s17
	global_store_dwordx4 v[32:33], v[6:9], off offset:8
.LBB1_347:                              ;   in Loop: Header=BB1_283 Depth=1
	s_or_b64 exec, exec, s[20:21]
	s_lshl_b64 s[16:17], s[18:19], 12
	v_mov_b32_e32 v6, s17
	v_add_co_u32_e32 v24, vcc, s16, v24
	v_addc_co_u32_e32 v25, vcc, v25, v6, vcc
	v_cmp_gt_u64_e32 vcc, 57, v[26:27]
	v_and_b32_e32 v0, 0xffffff1f, v0
	v_cndmask_b32_e32 v6, 0, v36, vcc
	v_lshl_add_u32 v7, v30, 2, 28
	v_or_b32_e32 v0, v0, v6
	v_and_or_b32 v0, v7, s23, v0
	v_readfirstlane_b32 s16, v24
	v_readfirstlane_b32 s17, v25
	s_nop 4
	global_store_dwordx4 v35, v[0:3], s[16:17]
	global_store_dwordx4 v35, v[10:13], s[16:17] offset:16
	global_store_dwordx4 v35, v[14:17], s[16:17] offset:32
	;; [unrolled: 1-line block ×3, first 2 shown]
	s_and_saveexec_b64 s[16:17], s[4:5]
	s_cbranch_execz .LBB1_355
; %bb.348:                              ;   in Loop: Header=BB1_283 Depth=1
	global_load_dwordx2 v[12:13], v29, s[10:11] offset:32 glc
	global_load_dwordx2 v[0:1], v29, s[10:11] offset:40
	v_mov_b32_e32 v10, s14
	v_mov_b32_e32 v11, s15
	s_waitcnt vmcnt(0)
	v_readfirstlane_b32 s18, v0
	v_readfirstlane_b32 s19, v1
	s_and_b64 s[18:19], s[18:19], s[14:15]
	s_mul_i32 s19, s19, 24
	s_mul_hi_u32 s20, s18, 24
	s_mul_i32 s18, s18, 24
	s_add_i32 s19, s20, s19
	v_mov_b32_e32 v0, s19
	v_add_co_u32_e32 v6, vcc, s18, v22
	v_addc_co_u32_e32 v7, vcc, v23, v0, vcc
	global_store_dwordx2 v[6:7], v[12:13], off
	s_waitcnt vmcnt(0)
	global_atomic_cmpswap_x2 v[2:3], v29, v[10:13], s[10:11] offset:32 glc
	s_waitcnt vmcnt(0)
	v_cmp_ne_u64_e32 vcc, v[2:3], v[12:13]
	s_and_saveexec_b64 s[18:19], vcc
	s_cbranch_execz .LBB1_351
; %bb.349:                              ;   in Loop: Header=BB1_283 Depth=1
	s_mov_b64 s[20:21], 0
.LBB1_350:                              ;   Parent Loop BB1_283 Depth=1
                                        ; =>  This Inner Loop Header: Depth=2
	s_sleep 1
	global_store_dwordx2 v[6:7], v[2:3], off
	v_mov_b32_e32 v0, s14
	v_mov_b32_e32 v1, s15
	s_waitcnt vmcnt(0)
	global_atomic_cmpswap_x2 v[0:1], v29, v[0:3], s[10:11] offset:32 glc
	s_waitcnt vmcnt(0)
	v_cmp_eq_u64_e32 vcc, v[0:1], v[2:3]
	v_mov_b32_e32 v3, v1
	s_or_b64 s[20:21], vcc, s[20:21]
	v_mov_b32_e32 v2, v0
	s_andn2_b64 exec, exec, s[20:21]
	s_cbranch_execnz .LBB1_350
.LBB1_351:                              ;   in Loop: Header=BB1_283 Depth=1
	s_or_b64 exec, exec, s[18:19]
	global_load_dwordx2 v[0:1], v29, s[10:11] offset:16
	s_mov_b64 s[20:21], exec
	v_mbcnt_lo_u32_b32 v2, s20, 0
	v_mbcnt_hi_u32_b32 v2, s21, v2
	v_cmp_eq_u32_e32 vcc, 0, v2
	s_and_saveexec_b64 s[18:19], vcc
	s_cbranch_execz .LBB1_353
; %bb.352:                              ;   in Loop: Header=BB1_283 Depth=1
	s_bcnt1_i32_b64 s20, s[20:21]
	v_mov_b32_e32 v28, s20
	s_waitcnt vmcnt(0)
	global_atomic_add_x2 v[0:1], v[28:29], off offset:8
.LBB1_353:                              ;   in Loop: Header=BB1_283 Depth=1
	s_or_b64 exec, exec, s[18:19]
	s_waitcnt vmcnt(0)
	global_load_dwordx2 v[2:3], v[0:1], off offset:16
	s_waitcnt vmcnt(0)
	v_cmp_eq_u64_e32 vcc, 0, v[2:3]
	s_cbranch_vccnz .LBB1_355
; %bb.354:                              ;   in Loop: Header=BB1_283 Depth=1
	global_load_dword v28, v[0:1], off offset:24
	s_waitcnt vmcnt(0)
	v_readfirstlane_b32 s18, v28
	s_and_b32 m0, s18, 0xffffff
	global_store_dwordx2 v[2:3], v[28:29], off
	s_sendmsg sendmsg(MSG_INTERRUPT)
.LBB1_355:                              ;   in Loop: Header=BB1_283 Depth=1
	s_or_b64 exec, exec, s[16:17]
	v_add_co_u32_e32 v0, vcc, v24, v35
	v_addc_co_u32_e32 v1, vcc, 0, v25, vcc
	s_branch .LBB1_359
.LBB1_356:                              ;   in Loop: Header=BB1_359 Depth=2
	s_or_b64 exec, exec, s[16:17]
	v_readfirstlane_b32 s16, v2
	s_cmp_eq_u32 s16, 0
	s_cbranch_scc1 .LBB1_358
; %bb.357:                              ;   in Loop: Header=BB1_359 Depth=2
	s_sleep 1
	s_cbranch_execnz .LBB1_359
	s_branch .LBB1_361
.LBB1_358:                              ;   in Loop: Header=BB1_283 Depth=1
	s_branch .LBB1_361
.LBB1_359:                              ;   Parent Loop BB1_283 Depth=1
                                        ; =>  This Inner Loop Header: Depth=2
	v_mov_b32_e32 v2, 1
	s_and_saveexec_b64 s[16:17], s[4:5]
	s_cbranch_execz .LBB1_356
; %bb.360:                              ;   in Loop: Header=BB1_359 Depth=2
	global_load_dword v2, v[32:33], off offset:20 glc
	s_waitcnt vmcnt(0)
	buffer_wbinvl1_vol
	v_and_b32_e32 v2, 1, v2
	s_branch .LBB1_356
.LBB1_361:                              ;   in Loop: Header=BB1_283 Depth=1
	global_load_dwordx2 v[0:1], v[0:1], off
	s_and_saveexec_b64 s[16:17], s[4:5]
	s_cbranch_execz .LBB1_282
; %bb.362:                              ;   in Loop: Header=BB1_283 Depth=1
	global_load_dwordx2 v[2:3], v29, s[10:11] offset:40
	global_load_dwordx2 v[14:15], v29, s[10:11] offset:24 glc
	global_load_dwordx2 v[6:7], v29, s[10:11]
	s_waitcnt vmcnt(2)
	v_readfirstlane_b32 s18, v2
	v_readfirstlane_b32 s19, v3
	s_add_u32 s20, s18, 1
	s_addc_u32 s21, s19, 0
	s_add_u32 s4, s20, s14
	s_addc_u32 s5, s21, s15
	s_cmp_eq_u64 s[4:5], 0
	s_cselect_b32 s5, s21, s5
	s_cselect_b32 s4, s20, s4
	s_and_b64 s[14:15], s[4:5], s[18:19]
	s_mul_i32 s15, s15, 24
	s_mul_hi_u32 s18, s14, 24
	s_mul_i32 s14, s14, 24
	s_add_i32 s15, s18, s15
	v_mov_b32_e32 v3, s15
	s_waitcnt vmcnt(0)
	v_add_co_u32_e32 v2, vcc, s14, v6
	v_addc_co_u32_e32 v3, vcc, v7, v3, vcc
	v_mov_b32_e32 v12, s4
	global_store_dwordx2 v[2:3], v[14:15], off
	v_mov_b32_e32 v13, s5
	s_waitcnt vmcnt(0)
	global_atomic_cmpswap_x2 v[12:13], v29, v[12:15], s[10:11] offset:24 glc
	s_waitcnt vmcnt(0)
	v_cmp_ne_u64_e32 vcc, v[12:13], v[14:15]
	s_and_b64 exec, exec, vcc
	s_cbranch_execz .LBB1_282
; %bb.363:                              ;   in Loop: Header=BB1_283 Depth=1
	s_mov_b64 s[14:15], 0
.LBB1_364:                              ;   Parent Loop BB1_283 Depth=1
                                        ; =>  This Inner Loop Header: Depth=2
	s_sleep 1
	global_store_dwordx2 v[2:3], v[12:13], off
	v_mov_b32_e32 v10, s4
	v_mov_b32_e32 v11, s5
	s_waitcnt vmcnt(0)
	global_atomic_cmpswap_x2 v[6:7], v29, v[10:13], s[10:11] offset:24 glc
	s_waitcnt vmcnt(0)
	v_cmp_eq_u64_e32 vcc, v[6:7], v[12:13]
	v_mov_b32_e32 v13, v7
	s_or_b64 s[14:15], vcc, s[14:15]
	v_mov_b32_e32 v12, v6
	s_andn2_b64 exec, exec, s[14:15]
	s_cbranch_execnz .LBB1_364
	s_branch .LBB1_282
.LBB1_365:
	s_or_b64 exec, exec, s[12:13]
                                        ; implicit-def: $vgpr35
                                        ; implicit-def: $vgpr34
.LBB1_366:
	s_andn2_saveexec_b64 s[6:7], s[6:7]
	s_cbranch_execz .LBB1_393
; %bb.367:
	v_readfirstlane_b32 s4, v34
	v_mov_b32_e32 v8, 0
	v_mov_b32_e32 v9, 0
	v_cmp_eq_u32_e64 s[4:5], s4, v34
	s_and_saveexec_b64 s[12:13], s[4:5]
	s_cbranch_execz .LBB1_373
; %bb.368:
	v_mov_b32_e32 v2, 0
	global_load_dwordx2 v[5:6], v2, s[10:11] offset:24 glc
	s_waitcnt vmcnt(0)
	buffer_wbinvl1_vol
	global_load_dwordx2 v[3:4], v2, s[10:11] offset:40
	global_load_dwordx2 v[7:8], v2, s[10:11]
	s_waitcnt vmcnt(1)
	v_and_b32_e32 v3, v3, v5
	v_and_b32_e32 v4, v4, v6
	v_mul_lo_u32 v4, v4, 24
	v_mul_hi_u32 v9, v3, 24
	v_mul_lo_u32 v3, v3, 24
	v_add_u32_e32 v4, v9, v4
	s_waitcnt vmcnt(0)
	v_add_co_u32_e32 v3, vcc, v7, v3
	v_addc_co_u32_e32 v4, vcc, v8, v4, vcc
	global_load_dwordx2 v[3:4], v[3:4], off glc
	s_waitcnt vmcnt(0)
	global_atomic_cmpswap_x2 v[8:9], v2, v[3:6], s[10:11] offset:24 glc
	s_waitcnt vmcnt(0)
	buffer_wbinvl1_vol
	v_cmp_ne_u64_e32 vcc, v[8:9], v[5:6]
	s_and_saveexec_b64 s[14:15], vcc
	s_cbranch_execz .LBB1_372
; %bb.369:
	s_mov_b64 s[16:17], 0
.LBB1_370:                              ; =>This Inner Loop Header: Depth=1
	s_sleep 1
	global_load_dwordx2 v[3:4], v2, s[10:11] offset:40
	global_load_dwordx2 v[10:11], v2, s[10:11]
	v_mov_b32_e32 v5, v8
	v_mov_b32_e32 v6, v9
	s_waitcnt vmcnt(1)
	v_and_b32_e32 v3, v3, v5
	s_waitcnt vmcnt(0)
	v_mad_u64_u32 v[7:8], s[18:19], v3, 24, v[10:11]
	v_and_b32_e32 v4, v4, v6
	v_mov_b32_e32 v3, v8
	v_mad_u64_u32 v[3:4], s[18:19], v4, 24, v[3:4]
	v_mov_b32_e32 v8, v3
	global_load_dwordx2 v[3:4], v[7:8], off glc
	s_waitcnt vmcnt(0)
	global_atomic_cmpswap_x2 v[8:9], v2, v[3:6], s[10:11] offset:24 glc
	s_waitcnt vmcnt(0)
	buffer_wbinvl1_vol
	v_cmp_eq_u64_e32 vcc, v[8:9], v[5:6]
	s_or_b64 s[16:17], vcc, s[16:17]
	s_andn2_b64 exec, exec, s[16:17]
	s_cbranch_execnz .LBB1_370
; %bb.371:
	s_or_b64 exec, exec, s[16:17]
.LBB1_372:
	s_or_b64 exec, exec, s[14:15]
.LBB1_373:
	s_or_b64 exec, exec, s[12:13]
	v_mov_b32_e32 v2, 0
	global_load_dwordx2 v[10:11], v2, s[10:11] offset:40
	global_load_dwordx4 v[4:7], v2, s[10:11]
	v_readfirstlane_b32 s13, v9
	v_readfirstlane_b32 s12, v8
	s_mov_b64 s[14:15], exec
	s_waitcnt vmcnt(1)
	v_readfirstlane_b32 s16, v10
	v_readfirstlane_b32 s17, v11
	s_and_b64 s[16:17], s[16:17], s[12:13]
	s_mul_i32 s18, s17, 24
	s_mul_hi_u32 s19, s16, 24
	s_mul_i32 s20, s16, 24
	s_add_i32 s18, s19, s18
	v_mov_b32_e32 v3, s18
	s_waitcnt vmcnt(0)
	v_add_co_u32_e32 v8, vcc, s20, v4
	v_addc_co_u32_e32 v9, vcc, v5, v3, vcc
	s_and_saveexec_b64 s[18:19], s[4:5]
	s_cbranch_execz .LBB1_375
; %bb.374:
	v_mov_b32_e32 v10, s14
	v_mov_b32_e32 v11, s15
	;; [unrolled: 1-line block ×4, first 2 shown]
	global_store_dwordx4 v[8:9], v[10:13], off offset:8
.LBB1_375:
	s_or_b64 exec, exec, s[18:19]
	s_lshl_b64 s[14:15], s[16:17], 12
	v_mov_b32_e32 v3, s15
	v_add_co_u32_e32 v10, vcc, s14, v6
	v_addc_co_u32_e32 v11, vcc, v7, v3, vcc
	s_movk_i32 s14, 0xff1f
	v_and_or_b32 v0, v0, s14, 32
	s_mov_b32 s16, 0
	v_mov_b32_e32 v3, v2
	v_readfirstlane_b32 s14, v10
	v_readfirstlane_b32 s15, v11
	v_add_co_u32_e32 v6, vcc, v10, v35
	s_mov_b32 s17, s16
	s_mov_b32 s18, s16
	s_mov_b32 s19, s16
	s_nop 0
	global_store_dwordx4 v35, v[0:3], s[14:15]
	v_addc_co_u32_e32 v7, vcc, 0, v11, vcc
	v_mov_b32_e32 v0, s16
	v_mov_b32_e32 v1, s17
	;; [unrolled: 1-line block ×4, first 2 shown]
	global_store_dwordx4 v35, v[0:3], s[14:15] offset:16
	global_store_dwordx4 v35, v[0:3], s[14:15] offset:32
	;; [unrolled: 1-line block ×3, first 2 shown]
	s_and_saveexec_b64 s[14:15], s[4:5]
	s_cbranch_execz .LBB1_383
; %bb.376:
	v_mov_b32_e32 v10, 0
	global_load_dwordx2 v[13:14], v10, s[10:11] offset:32 glc
	global_load_dwordx2 v[0:1], v10, s[10:11] offset:40
	v_mov_b32_e32 v11, s12
	v_mov_b32_e32 v12, s13
	s_waitcnt vmcnt(0)
	v_readfirstlane_b32 s16, v0
	v_readfirstlane_b32 s17, v1
	s_and_b64 s[16:17], s[16:17], s[12:13]
	s_mul_i32 s17, s17, 24
	s_mul_hi_u32 s18, s16, 24
	s_mul_i32 s16, s16, 24
	s_add_i32 s17, s18, s17
	v_mov_b32_e32 v0, s17
	v_add_co_u32_e32 v4, vcc, s16, v4
	v_addc_co_u32_e32 v5, vcc, v5, v0, vcc
	global_store_dwordx2 v[4:5], v[13:14], off
	s_waitcnt vmcnt(0)
	global_atomic_cmpswap_x2 v[2:3], v10, v[11:14], s[10:11] offset:32 glc
	s_waitcnt vmcnt(0)
	v_cmp_ne_u64_e32 vcc, v[2:3], v[13:14]
	s_and_saveexec_b64 s[16:17], vcc
	s_cbranch_execz .LBB1_379
; %bb.377:
	s_mov_b64 s[18:19], 0
.LBB1_378:                              ; =>This Inner Loop Header: Depth=1
	s_sleep 1
	global_store_dwordx2 v[4:5], v[2:3], off
	v_mov_b32_e32 v0, s12
	v_mov_b32_e32 v1, s13
	s_waitcnt vmcnt(0)
	global_atomic_cmpswap_x2 v[0:1], v10, v[0:3], s[10:11] offset:32 glc
	s_waitcnt vmcnt(0)
	v_cmp_eq_u64_e32 vcc, v[0:1], v[2:3]
	v_mov_b32_e32 v3, v1
	s_or_b64 s[18:19], vcc, s[18:19]
	v_mov_b32_e32 v2, v0
	s_andn2_b64 exec, exec, s[18:19]
	s_cbranch_execnz .LBB1_378
.LBB1_379:
	s_or_b64 exec, exec, s[16:17]
	v_mov_b32_e32 v3, 0
	global_load_dwordx2 v[0:1], v3, s[10:11] offset:16
	s_mov_b64 s[16:17], exec
	v_mbcnt_lo_u32_b32 v2, s16, 0
	v_mbcnt_hi_u32_b32 v2, s17, v2
	v_cmp_eq_u32_e32 vcc, 0, v2
	s_and_saveexec_b64 s[18:19], vcc
	s_cbranch_execz .LBB1_381
; %bb.380:
	s_bcnt1_i32_b64 s16, s[16:17]
	v_mov_b32_e32 v2, s16
	s_waitcnt vmcnt(0)
	global_atomic_add_x2 v[0:1], v[2:3], off offset:8
.LBB1_381:
	s_or_b64 exec, exec, s[18:19]
	s_waitcnt vmcnt(0)
	global_load_dwordx2 v[2:3], v[0:1], off offset:16
	s_waitcnt vmcnt(0)
	v_cmp_eq_u64_e32 vcc, 0, v[2:3]
	s_cbranch_vccnz .LBB1_383
; %bb.382:
	global_load_dword v0, v[0:1], off offset:24
	v_mov_b32_e32 v1, 0
	s_waitcnt vmcnt(0)
	v_readfirstlane_b32 s16, v0
	s_and_b32 m0, s16, 0xffffff
	global_store_dwordx2 v[2:3], v[0:1], off
	s_sendmsg sendmsg(MSG_INTERRUPT)
.LBB1_383:
	s_or_b64 exec, exec, s[14:15]
	s_branch .LBB1_387
.LBB1_384:                              ;   in Loop: Header=BB1_387 Depth=1
	s_or_b64 exec, exec, s[14:15]
	v_readfirstlane_b32 s14, v0
	s_cmp_eq_u32 s14, 0
	s_cbranch_scc1 .LBB1_386
; %bb.385:                              ;   in Loop: Header=BB1_387 Depth=1
	s_sleep 1
	s_cbranch_execnz .LBB1_387
	s_branch .LBB1_389
.LBB1_386:
	s_branch .LBB1_389
.LBB1_387:                              ; =>This Inner Loop Header: Depth=1
	v_mov_b32_e32 v0, 1
	s_and_saveexec_b64 s[14:15], s[4:5]
	s_cbranch_execz .LBB1_384
; %bb.388:                              ;   in Loop: Header=BB1_387 Depth=1
	global_load_dword v0, v[8:9], off offset:20 glc
	s_waitcnt vmcnt(0)
	buffer_wbinvl1_vol
	v_and_b32_e32 v0, 1, v0
	s_branch .LBB1_384
.LBB1_389:
	global_load_dwordx2 v[0:1], v[6:7], off
	s_and_saveexec_b64 s[14:15], s[4:5]
	s_cbranch_execz .LBB1_392
; %bb.390:
	v_mov_b32_e32 v8, 0
	global_load_dwordx2 v[2:3], v8, s[10:11] offset:40
	global_load_dwordx2 v[11:12], v8, s[10:11] offset:24 glc
	global_load_dwordx2 v[4:5], v8, s[10:11]
	s_waitcnt vmcnt(2)
	v_readfirstlane_b32 s16, v2
	v_readfirstlane_b32 s17, v3
	s_add_u32 s18, s16, 1
	s_addc_u32 s19, s17, 0
	s_add_u32 s4, s18, s12
	s_addc_u32 s5, s19, s13
	s_cmp_eq_u64 s[4:5], 0
	s_cselect_b32 s5, s19, s5
	s_cselect_b32 s4, s18, s4
	s_and_b64 s[12:13], s[4:5], s[16:17]
	s_mul_i32 s13, s13, 24
	s_mul_hi_u32 s16, s12, 24
	s_mul_i32 s12, s12, 24
	s_add_i32 s13, s16, s13
	v_mov_b32_e32 v2, s13
	s_waitcnt vmcnt(0)
	v_add_co_u32_e32 v6, vcc, s12, v4
	v_addc_co_u32_e32 v7, vcc, v5, v2, vcc
	v_mov_b32_e32 v9, s4
	global_store_dwordx2 v[6:7], v[11:12], off
	v_mov_b32_e32 v10, s5
	s_waitcnt vmcnt(0)
	global_atomic_cmpswap_x2 v[4:5], v8, v[9:12], s[10:11] offset:24 glc
	s_mov_b64 s[12:13], 0
	s_waitcnt vmcnt(0)
	v_cmp_ne_u64_e32 vcc, v[4:5], v[11:12]
	s_and_b64 exec, exec, vcc
	s_cbranch_execz .LBB1_392
.LBB1_391:                              ; =>This Inner Loop Header: Depth=1
	s_sleep 1
	global_store_dwordx2 v[6:7], v[4:5], off
	v_mov_b32_e32 v2, s4
	v_mov_b32_e32 v3, s5
	s_waitcnt vmcnt(0)
	global_atomic_cmpswap_x2 v[2:3], v8, v[2:5], s[10:11] offset:24 glc
	s_waitcnt vmcnt(0)
	v_cmp_eq_u64_e32 vcc, v[2:3], v[4:5]
	v_mov_b32_e32 v5, v3
	s_or_b64 s[12:13], vcc, s[12:13]
	v_mov_b32_e32 v4, v2
	s_andn2_b64 exec, exec, s[12:13]
	s_cbranch_execnz .LBB1_391
.LBB1_392:
	s_or_b64 exec, exec, s[14:15]
.LBB1_393:
	s_or_b64 exec, exec, s[6:7]
	s_getpc_b64 s[4:5]
	s_add_u32 s4, s4, .str.3@rel32@lo+4
	s_addc_u32 s5, s5, .str.3@rel32@hi+12
	s_getpc_b64 s[6:7]
	s_add_u32 s6, s6, .str.3@rel32@lo+32
	s_addc_u32 s7, s7, .str.3@rel32@hi+40
	s_sub_i32 s10, s6, s4
	s_ashr_i32 s11, s10, 31
	s_getpc_b64 s[6:7]
	s_add_u32 s6, s6, __ockl_fprintf_append_string_n@rel32@lo+4
	s_addc_u32 s7, s7, __ockl_fprintf_append_string_n@rel32@hi+12
	v_mov_b32_e32 v2, s4
	v_mov_b32_e32 v3, s5
	;; [unrolled: 1-line block ×5, first 2 shown]
	s_swappc_b64 s[30:31], s[6:7]
	s_trap 2
.Lfunc_end1:
	.size	__assert_fail, .Lfunc_end1-__assert_fail
                                        ; -- End function
	.set .L__assert_fail.num_vgpr, max(41, .L__ockl_fprintf_append_string_n.num_vgpr)
	.set .L__assert_fail.num_agpr, max(0, .L__ockl_fprintf_append_string_n.num_agpr)
	.set .L__assert_fail.numbered_sgpr, max(34, .L__ockl_fprintf_append_string_n.numbered_sgpr)
	.set .L__assert_fail.num_named_barrier, max(0, .L__ockl_fprintf_append_string_n.num_named_barrier)
	.set .L__assert_fail.private_seg_size, 64+max(.L__ockl_fprintf_append_string_n.private_seg_size)
	.set .L__assert_fail.uses_vcc, or(1, .L__ockl_fprintf_append_string_n.uses_vcc)
	.set .L__assert_fail.uses_flat_scratch, or(0, .L__ockl_fprintf_append_string_n.uses_flat_scratch)
	.set .L__assert_fail.has_dyn_sized_stack, or(0, .L__ockl_fprintf_append_string_n.has_dyn_sized_stack)
	.set .L__assert_fail.has_recursion, or(0, .L__ockl_fprintf_append_string_n.has_recursion)
	.set .L__assert_fail.has_indirect_call, or(0, .L__ockl_fprintf_append_string_n.has_indirect_call)
	.section	.AMDGPU.csdata,"",@progbits
; Function info:
; codeLenInByte = 13844
; TotalNumSgprs: 38
; NumVgprs: 41
; ScratchSize: 64
; MemoryBound: 0
	.text
	.p2align	2                               ; -- Begin function _ZN12_GLOBAL__N_17runRingIa7FuncSumIaE11ProtoSimpleILi2ELi2ELi0ELi1ELi0ELi0EELi0ELi1ELi0EEEviiP15ncclDevWorkColl
	.type	_ZN12_GLOBAL__N_17runRingIa7FuncSumIaE11ProtoSimpleILi2ELi2ELi0ELi1ELi0ELi0EELi0ELi1ELi0EEEviiP15ncclDevWorkColl,@function
_ZN12_GLOBAL__N_17runRingIa7FuncSumIaE11ProtoSimpleILi2ELi2ELi0ELi1ELi0ELi0EELi0ELi1ELi0EEEviiP15ncclDevWorkColl: ; @_ZN12_GLOBAL__N_17runRingIa7FuncSumIaE11ProtoSimpleILi2ELi2ELi0ELi1ELi0ELi0EELi0ELi1ELi0EEEviiP15ncclDevWorkColl
; %bb.0:
	s_waitcnt vmcnt(0) expcnt(0) lgkmcnt(0)
	s_mov_b32 s4, s33
	s_mov_b32 s33, s32
	s_or_saveexec_b64 s[6:7], -1
	buffer_store_dword v63, off, s[0:3], s33 offset:196 ; 4-byte Folded Spill
	s_mov_b64 exec, s[6:7]
	v_writelane_b32 v63, s4, 18
	s_addk_i32 s32, 0x3400
	buffer_store_dword v40, off, s[0:3], s33 offset:56 ; 4-byte Folded Spill
	buffer_store_dword v41, off, s[0:3], s33 offset:52 ; 4-byte Folded Spill
	;; [unrolled: 1-line block ×14, first 2 shown]
	buffer_store_dword v62, off, s[0:3], s33 ; 4-byte Folded Spill
	v_writelane_b32 v63, s34, 0
	v_writelane_b32 v63, s35, 1
	;; [unrolled: 1-line block ×18, first 2 shown]
	v_mov_b32_e32 v36, v3
	v_mov_b32_e32 v35, v2
	buffer_store_dword v31, off, s[0:3], s33 offset:168 ; 4-byte Folded Spill
	s_trap 2
	flat_load_dword v2, v[35:36]
	flat_load_dwordx4 v[4:7], v[35:36] offset:72
	flat_load_dwordx2 v[8:9], v[35:36] offset:88
	ds_read_b32 v12, v0
                                        ; implicit-def: $vgpr28_vgpr29
	s_waitcnt lgkmcnt(0)
	v_readfirstlane_b32 s48, v12
	s_waitcnt vmcnt(0)
	v_and_b32_e32 v13, 0xff, v2
	v_bfe_u32 v14, v2, 8, 8
	v_cmp_ne_u32_e32 vcc, v12, v13
	s_and_saveexec_b64 s[4:5], vcc
	s_xor_b64 s[4:5], exec, s[4:5]
	s_cbranch_execz .LBB2_6
; %bb.1:
	flat_load_dwordx2 v[10:11], v[35:36] offset:96
	v_cmp_ne_u32_e32 vcc, v12, v14
                                        ; implicit-def: $vgpr28_vgpr29
	s_and_saveexec_b64 s[6:7], vcc
	s_xor_b64 s[6:7], exec, s[6:7]
	s_cbranch_execz .LBB2_3
; %bb.2:
	s_waitcnt vmcnt(0) lgkmcnt(0)
	v_lshrrev_b64 v[28:29], 12, v[10:11]
                                        ; implicit-def: $vgpr10_vgpr11
.LBB2_3:
	s_andn2_saveexec_b64 s[6:7], s[6:7]
	s_cbranch_execz .LBB2_5
; %bb.4:
	s_waitcnt vmcnt(0) lgkmcnt(0)
	v_lshrrev_b32_e32 v28, 1, v11
.LBB2_5:
	s_or_b64 exec, exec, s[6:7]
.LBB2_6:
	s_andn2_saveexec_b64 s[4:5], s[4:5]
	s_cbranch_execz .LBB2_8
; %bb.7:
	flat_load_dwordx2 v[2:3], v[35:36] offset:96
	s_waitcnt vmcnt(0) lgkmcnt(0)
	v_lshlrev_b64 v[28:29], 9, v[2:3]
.LBB2_8:
	s_or_b64 exec, exec, s[4:5]
	s_waitcnt vmcnt(0) lgkmcnt(0)
	flat_load_ushort v10, v[35:36] offset:8
	v_xad_u32 v2, v13, -1, v14
	v_ashrrev_i32_e32 v11, 31, v2
	v_mul_lo_u32 v7, v7, v2
	v_mad_u64_u32 v[2:3], s[4:5], v6, v2, v[4:5]
	v_mul_lo_u32 v4, v6, v11
	s_mov_b32 s4, 0
	v_add_co_u32_e32 v5, vcc, v2, v8
	v_add3_u32 v3, v7, v3, v4
	v_addc_co_u32_e32 v11, vcc, v3, v9, vcc
	v_sub_co_u32_e32 v4, vcc, 0, v5
	v_subb_co_u32_e32 v2, vcc, 0, v11, vcc
	v_and_b32_e32 v2, v11, v2
	v_cvt_f64_u32_e32 v[2:3], v2
	v_and_b32_e32 v4, v5, v4
	buffer_store_dword v5, off, s[0:3], s33 offset:88 ; 4-byte Folded Spill
	v_cvt_f64_u32_e32 v[4:5], v4
	v_ldexp_f64 v[2:3], v[2:3], 32
	s_mov_b32 s5, 0x40700000
	v_sub_u32_e32 v7, v12, v13
	buffer_store_dword v11, off, s[0:3], s33 offset:92 ; 4-byte Folded Spill
                                        ; implicit-def: $vgpr24_vgpr25
	v_add_f64 v[4:5], v[2:3], v[4:5]
	v_min_f64 v[4:5], v[4:5], s[4:5]
	v_cvt_i32_f64_e32 v52, v[4:5]
	v_mov_b32_e32 v4, 0
	s_waitcnt vmcnt(0) lgkmcnt(0)
	v_lshrrev_b32_e32 v3, 1, v10
	v_lshlrev_b32_e32 v6, 1, v3
	v_sub_u32_e32 v2, 0, v6
	v_max_i32_e32 v8, v6, v2
	v_cvt_f32_u32_e32 v2, v8
	v_sub_u32_e32 v10, 0, v8
	v_rcp_iflag_f32_e32 v2, v2
	v_mul_f32_e32 v2, 0x4f7ffffe, v2
	v_cvt_u32_f32_e32 v9, v2
	v_sub_u32_e32 v2, 0, v7
	v_max_i32_e32 v12, v7, v2
	v_ashrrev_i32_e32 v2, 31, v52
	v_mul_lo_u32 v10, v10, v9
	v_or_b32_e32 v5, v11, v2
	v_cmp_ne_u64_e32 vcc, 0, v[4:5]
	v_mul_hi_u32 v10, v9, v10
	v_add_u32_e32 v4, v9, v10
	s_and_saveexec_b64 s[4:5], vcc
	s_xor_b64 s[6:7], exec, s[4:5]
	s_cbranch_execz .LBB2_10
; %bb.9:
	v_cvt_f32_u32_e32 v5, v52
	v_cvt_f32_u32_e32 v9, v2
	v_sub_co_u32_e32 v18, vcc, 0, v52
	v_subb_co_u32_e32 v19, vcc, 0, v2, vcc
	v_madmk_f32 v5, v9, 0x4f800000, v5
	v_rcp_f32_e32 v5, v5
	v_mul_f32_e32 v5, 0x5f7ffffc, v5
	v_mul_f32_e32 v9, 0x2f800000, v5
	v_trunc_f32_e32 v9, v9
	v_madmk_f32 v5, v9, 0xcf800000, v5
	v_cvt_u32_f32_e32 v17, v9
	v_cvt_u32_f32_e32 v5, v5
	v_mul_lo_u32 v11, v18, v17
	v_mul_lo_u32 v15, v19, v5
	v_mad_u64_u32 v[9:10], s[4:5], v18, v5, 0
	v_add3_u32 v15, v10, v11, v15
	v_mul_hi_u32 v16, v5, v9
	v_mad_u64_u32 v[10:11], s[4:5], v5, v15, 0
	v_add_co_u32_e32 v20, vcc, v16, v10
	v_mad_u64_u32 v[9:10], s[4:5], v17, v9, 0
	v_mad_u64_u32 v[15:16], s[4:5], v17, v15, 0
	v_addc_co_u32_e32 v11, vcc, 0, v11, vcc
	v_add_co_u32_e32 v9, vcc, v20, v9
	v_addc_co_u32_e32 v9, vcc, v11, v10, vcc
	v_addc_co_u32_e32 v10, vcc, 0, v16, vcc
	v_add_co_u32_e32 v9, vcc, v9, v15
	v_addc_co_u32_e32 v10, vcc, 0, v10, vcc
	v_add_co_u32_e32 v5, vcc, v5, v9
	v_addc_co_u32_e32 v20, vcc, v17, v10, vcc
	v_mul_lo_u32 v11, v18, v20
	v_mul_lo_u32 v15, v19, v5
	v_mad_u64_u32 v[9:10], s[4:5], v18, v5, 0
	v_add3_u32 v15, v10, v11, v15
	v_mad_u64_u32 v[10:11], s[4:5], v20, v15, 0
	v_mad_u64_u32 v[15:16], s[4:5], v5, v15, 0
	v_mul_hi_u32 v19, v5, v9
	v_mad_u64_u32 v[17:18], s[4:5], v20, v9, 0
	v_add_co_u32_e32 v9, vcc, v19, v15
	v_addc_co_u32_e32 v15, vcc, 0, v16, vcc
	v_add_co_u32_e32 v9, vcc, v9, v17
	v_addc_co_u32_e32 v9, vcc, v15, v18, vcc
	buffer_load_dword v19, off, s[0:3], s33 offset:88 ; 4-byte Folded Reload
	v_addc_co_u32_e32 v11, vcc, 0, v11, vcc
	v_add_co_u32_e32 v9, vcc, v9, v10
	v_addc_co_u32_e32 v10, vcc, 0, v11, vcc
	v_add_co_u32_e32 v5, vcc, v5, v9
	v_addc_co_u32_e32 v11, vcc, v20, v10, vcc
	buffer_load_dword v20, off, s[0:3], s33 offset:92 ; 4-byte Folded Reload
	s_waitcnt vmcnt(1)
	v_mad_u64_u32 v[9:10], s[4:5], v19, v11, 0
	v_mul_hi_u32 v15, v19, v5
	v_add_co_u32_e32 v17, vcc, v15, v9
	v_addc_co_u32_e32 v18, vcc, 0, v10, vcc
	s_waitcnt vmcnt(0)
	v_mad_u64_u32 v[9:10], s[4:5], v20, v5, 0
	v_mad_u64_u32 v[15:16], s[4:5], v20, v11, 0
	v_add_co_u32_e32 v5, vcc, v17, v9
	v_addc_co_u32_e32 v5, vcc, v18, v10, vcc
	v_addc_co_u32_e32 v9, vcc, 0, v16, vcc
	v_add_co_u32_e32 v5, vcc, v5, v15
	v_addc_co_u32_e32 v11, vcc, 0, v9, vcc
	v_mul_lo_u32 v15, v2, v5
	v_mul_lo_u32 v16, v52, v11
	v_mad_u64_u32 v[9:10], s[4:5], v52, v5, 0
	v_add3_u32 v10, v10, v16, v15
	v_sub_u32_e32 v15, v20, v10
	v_sub_co_u32_e32 v9, vcc, v19, v9
	v_subb_co_u32_e64 v15, s[4:5], v15, v2, vcc
	v_sub_co_u32_e64 v16, s[4:5], v9, v52
	v_subbrev_co_u32_e64 v15, s[4:5], 0, v15, s[4:5]
	v_cmp_ge_u32_e64 s[4:5], v15, v2
	v_cndmask_b32_e64 v17, 0, -1, s[4:5]
	v_cmp_ge_u32_e64 s[4:5], v16, v52
	v_cndmask_b32_e64 v16, 0, -1, s[4:5]
	v_cmp_eq_u32_e64 s[4:5], v15, v2
	v_cndmask_b32_e64 v15, v17, v16, s[4:5]
	v_add_co_u32_e64 v16, s[4:5], 2, v5
	v_addc_co_u32_e64 v17, s[4:5], 0, v11, s[4:5]
	v_add_co_u32_e64 v18, s[4:5], 1, v5
	v_addc_co_u32_e64 v19, s[4:5], 0, v11, s[4:5]
	v_subb_co_u32_e32 v10, vcc, v20, v10, vcc
	v_cmp_ne_u32_e64 s[4:5], 0, v15
	v_cmp_ge_u32_e32 vcc, v10, v2
	v_cndmask_b32_e64 v15, v19, v17, s[4:5]
	v_cndmask_b32_e64 v17, 0, -1, vcc
	v_cmp_ge_u32_e32 vcc, v9, v52
	v_cndmask_b32_e64 v9, 0, -1, vcc
	v_cmp_eq_u32_e32 vcc, v10, v2
	v_cndmask_b32_e32 v9, v17, v9, vcc
	v_cmp_ne_u32_e32 vcc, 0, v9
	v_cndmask_b32_e64 v9, v18, v16, s[4:5]
	v_cndmask_b32_e32 v25, v11, v15, vcc
	v_cndmask_b32_e32 v24, v5, v9, vcc
.LBB2_10:
	s_or_saveexec_b64 s[4:5], s[6:7]
	v_mad_u64_u32 v[4:5], s[6:7], v12, v4, 0
	s_xor_b64 exec, exec, s[4:5]
	s_cbranch_execz .LBB2_12
; %bb.11:
	buffer_load_dword v11, off, s[0:3], s33 offset:88 ; 4-byte Folded Reload
	v_cvt_f32_u32_e32 v4, v52
	v_sub_u32_e32 v9, 0, v52
	v_mov_b32_e32 v25, 0
	v_rcp_iflag_f32_e32 v4, v4
	v_mul_f32_e32 v4, 0x4f7ffffe, v4
	v_cvt_u32_f32_e32 v4, v4
	v_mul_lo_u32 v9, v9, v4
	v_mul_hi_u32 v9, v4, v9
	v_add_u32_e32 v4, v4, v9
	s_waitcnt vmcnt(0)
	v_mul_hi_u32 v4, v11, v4
	v_mul_lo_u32 v9, v4, v52
	v_add_u32_e32 v10, 1, v4
	v_sub_u32_e32 v9, v11, v9
	v_sub_u32_e32 v11, v9, v52
	v_cmp_ge_u32_e32 vcc, v9, v52
	v_cndmask_b32_e32 v9, v9, v11, vcc
	v_cndmask_b32_e32 v4, v4, v10, vcc
	v_add_u32_e32 v10, 1, v4
	v_cmp_ge_u32_e32 vcc, v9, v52
	v_cndmask_b32_e32 v24, v4, v10, vcc
.LBB2_12:
	s_or_b64 exec, exec, s[4:5]
	v_sub_u32_e32 v4, v14, v13
	v_add_u16_e32 v4, 1, v4
	v_lshrrev_b16_e32 v9, 15, v4
	v_add_u16_e32 v4, v4, v9
	v_ashrrev_i16_e32 v4, 1, v4
	v_bfe_i32 v13, v4, 0, 16
	v_ashrrev_i32_e32 v4, 31, v13
	v_or_b32_e32 v10, v25, v4
	v_mov_b32_e32 v9, 0
	v_cmp_ne_u64_e32 vcc, 0, v[9:10]
                                        ; implicit-def: $vgpr33_vgpr34
	s_and_saveexec_b64 s[4:5], vcc
	s_xor_b64 s[6:7], exec, s[4:5]
	s_cbranch_execz .LBB2_14
; %bb.13:
	v_ashrrev_i32_e32 v18, 31, v4
	v_add_co_u32_e32 v9, vcc, v13, v18
	v_addc_co_u32_e32 v4, vcc, v4, v18, vcc
	v_xor_b32_e32 v4, v4, v18
	v_xor_b32_e32 v19, v9, v18
	v_cvt_f32_u32_e32 v9, v19
	v_cvt_f32_u32_e32 v10, v4
	v_sub_co_u32_e32 v17, vcc, 0, v19
	v_subb_co_u32_e32 v20, vcc, 0, v4, vcc
	v_madmk_f32 v9, v10, 0x4f800000, v9
	v_rcp_f32_e32 v9, v9
	v_mul_f32_e32 v9, 0x5f7ffffc, v9
	v_mul_f32_e32 v10, 0x2f800000, v9
	v_trunc_f32_e32 v10, v10
	v_madmk_f32 v9, v10, 0xcf800000, v9
	v_cvt_u32_f32_e32 v16, v9
	v_cvt_u32_f32_e32 v21, v10
	v_mul_lo_u32 v11, v20, v16
	v_mad_u64_u32 v[9:10], s[4:5], v17, v16, 0
	v_mul_lo_u32 v14, v17, v21
	v_mul_hi_u32 v15, v16, v9
	v_add3_u32 v14, v10, v14, v11
	v_mad_u64_u32 v[10:11], s[4:5], v16, v14, 0
	v_add_co_u32_e32 v22, vcc, v15, v10
	v_mad_u64_u32 v[9:10], s[4:5], v21, v9, 0
	v_mad_u64_u32 v[14:15], s[4:5], v21, v14, 0
	v_addc_co_u32_e32 v11, vcc, 0, v11, vcc
	v_add_co_u32_e32 v9, vcc, v22, v9
	v_addc_co_u32_e32 v9, vcc, v11, v10, vcc
	v_addc_co_u32_e32 v10, vcc, 0, v15, vcc
	v_add_co_u32_e32 v9, vcc, v9, v14
	v_addc_co_u32_e32 v10, vcc, 0, v10, vcc
	v_add_co_u32_e32 v22, vcc, v16, v9
	v_addc_co_u32_e32 v21, vcc, v21, v10, vcc
	v_mul_lo_u32 v11, v17, v21
	v_mul_lo_u32 v14, v20, v22
	v_mad_u64_u32 v[9:10], s[4:5], v17, v22, 0
	v_add3_u32 v14, v10, v11, v14
	v_mad_u64_u32 v[10:11], s[4:5], v21, v14, 0
	v_mad_u64_u32 v[14:15], s[4:5], v22, v14, 0
	v_mul_hi_u32 v20, v22, v9
	v_mad_u64_u32 v[16:17], s[4:5], v21, v9, 0
	v_add_co_u32_e32 v9, vcc, v20, v14
	v_addc_co_u32_e32 v14, vcc, 0, v15, vcc
	v_add_co_u32_e32 v9, vcc, v9, v16
	v_addc_co_u32_e32 v9, vcc, v14, v17, vcc
	v_addc_co_u32_e32 v11, vcc, 0, v11, vcc
	v_add_co_u32_e32 v9, vcc, v9, v10
	v_addc_co_u32_e32 v10, vcc, 0, v11, vcc
	v_add_co_u32_e32 v11, vcc, v22, v9
	v_addc_co_u32_e32 v14, vcc, v21, v10, vcc
	v_ashrrev_i32_e32 v16, 31, v25
	v_add_co_u32_e32 v9, vcc, v24, v16
	v_xor_b32_e32 v17, v9, v16
	v_mad_u64_u32 v[9:10], s[4:5], v17, v14, 0
	v_mul_hi_u32 v20, v17, v11
	v_addc_co_u32_e32 v15, vcc, v25, v16, vcc
	v_xor_b32_e32 v21, v15, v16
	v_add_co_u32_e32 v20, vcc, v20, v9
	v_addc_co_u32_e32 v22, vcc, 0, v10, vcc
	v_mad_u64_u32 v[9:10], s[4:5], v21, v11, 0
	v_mad_u64_u32 v[14:15], s[4:5], v21, v14, 0
	v_add_co_u32_e32 v9, vcc, v20, v9
	v_addc_co_u32_e32 v9, vcc, v22, v10, vcc
	v_addc_co_u32_e32 v10, vcc, 0, v15, vcc
	v_add_co_u32_e32 v11, vcc, v9, v14
	v_addc_co_u32_e32 v14, vcc, 0, v10, vcc
	v_mul_lo_u32 v15, v4, v11
	v_mul_lo_u32 v20, v19, v14
	v_mad_u64_u32 v[9:10], s[4:5], v19, v11, 0
	v_add3_u32 v10, v10, v20, v15
	v_sub_u32_e32 v15, v21, v10
	v_sub_co_u32_e32 v9, vcc, v17, v9
	v_subb_co_u32_e64 v15, s[4:5], v15, v4, vcc
	v_sub_co_u32_e64 v17, s[4:5], v9, v19
	v_subbrev_co_u32_e64 v15, s[4:5], 0, v15, s[4:5]
	v_cmp_ge_u32_e64 s[4:5], v15, v4
	v_cndmask_b32_e64 v20, 0, -1, s[4:5]
	v_cmp_ge_u32_e64 s[4:5], v17, v19
	v_cndmask_b32_e64 v17, 0, -1, s[4:5]
	v_cmp_eq_u32_e64 s[4:5], v15, v4
	v_cndmask_b32_e64 v15, v20, v17, s[4:5]
	v_add_co_u32_e64 v17, s[4:5], 2, v11
	v_addc_co_u32_e64 v20, s[4:5], 0, v14, s[4:5]
	v_add_co_u32_e64 v22, s[4:5], 1, v11
	v_addc_co_u32_e64 v23, s[4:5], 0, v14, s[4:5]
	v_subb_co_u32_e32 v10, vcc, v21, v10, vcc
	v_cmp_ne_u32_e64 s[4:5], 0, v15
	v_cmp_ge_u32_e32 vcc, v10, v4
	v_cndmask_b32_e64 v15, v23, v20, s[4:5]
	v_cndmask_b32_e64 v20, 0, -1, vcc
	v_cmp_ge_u32_e32 vcc, v9, v19
	v_cndmask_b32_e64 v9, 0, -1, vcc
	v_cmp_eq_u32_e32 vcc, v10, v4
	v_cndmask_b32_e32 v4, v20, v9, vcc
	v_cmp_ne_u32_e32 vcc, 0, v4
	v_cndmask_b32_e64 v9, v22, v17, s[4:5]
	v_cndmask_b32_e32 v9, v11, v9, vcc
	v_xor_b32_e32 v10, v16, v18
	v_cndmask_b32_e32 v4, v14, v15, vcc
	v_xor_b32_e32 v9, v9, v10
	v_xor_b32_e32 v4, v4, v10
	v_sub_co_u32_e32 v33, vcc, v9, v10
	v_subb_co_u32_e32 v34, vcc, v4, v10, vcc
.LBB2_14:
	s_andn2_saveexec_b64 s[4:5], s[6:7]
	s_cbranch_execz .LBB2_16
; %bb.15:
	v_cvt_f32_u32_e32 v4, v13
	v_sub_u32_e32 v9, 0, v13
	v_mov_b32_e32 v34, 0
	v_rcp_iflag_f32_e32 v4, v4
	v_mul_f32_e32 v4, 0x4f7ffffe, v4
	v_cvt_u32_f32_e32 v4, v4
	v_mul_lo_u32 v9, v9, v4
	v_mul_hi_u32 v9, v4, v9
	v_add_u32_e32 v4, v4, v9
	v_mul_hi_u32 v4, v24, v4
	v_mul_lo_u32 v9, v4, v13
	v_add_u32_e32 v10, 1, v4
	v_sub_u32_e32 v9, v24, v9
	v_sub_u32_e32 v11, v9, v13
	v_cmp_ge_u32_e32 vcc, v9, v13
	v_cndmask_b32_e32 v9, v9, v11, vcc
	v_cndmask_b32_e32 v4, v4, v10, vcc
	v_add_u32_e32 v10, 1, v4
	v_cmp_ge_u32_e32 vcc, v9, v13
	v_cndmask_b32_e32 v33, v4, v10, vcc
.LBB2_16:
	s_or_b64 exec, exec, s[4:5]
	v_mul_lo_u32 v4, v5, v8
	s_trap 2
	ds_read_b64 v[9:10], v0
	v_sub_u32_e32 v4, v12, v4
	v_sub_u32_e32 v11, v4, v8
	v_cmp_ge_u32_e64 s[4:5], v4, v8
	s_waitcnt lgkmcnt(0)
	v_cmp_ne_u32_e32 vcc, -1, v9
	v_cndmask_b32_e64 v4, v4, v11, s[4:5]
	v_cndmask_b32_e64 v27, 0, 1, vcc
	v_cmp_ne_u32_e32 vcc, -1, v10
	v_cmp_ge_u32_e64 s[6:7], v4, v8
	v_addc_co_u32_e64 v4, s[10:11], 0, v27, vcc
	v_lshlrev_b32_e32 v8, 1, v4
	v_cmp_le_u32_e64 s[10:11], v8, v1
	s_and_saveexec_b64 s[14:15], s[10:11]
	s_xor_b64 s[24:25], exec, s[14:15]
	s_cbranch_execz .LBB2_650
; %bb.17:
	flat_load_dwordx4 v[8:11], v[35:36] offset:16
	s_trap 2
	s_load_dword s10, s[8:9], 0x0
	v_mov_b32_e32 v14, 0
	v_add_u32_e32 v18, 1, v5
	v_cndmask_b32_e64 v5, v5, v18, s[4:5]
	v_bfe_i32 v15, v3, 30, 1
	s_waitcnt lgkmcnt(0)
	s_cmp_lt_u32 s12, s10
	s_cselect_b32 s10, 12, 18
	s_add_u32 s10, s8, s10
	s_addc_u32 s11, s9, 0
	global_load_ushort v14, v14, s[10:11]
	v_add_u32_e32 v18, 1, v5
	v_cndmask_b32_e64 v5, v5, v18, s[6:7]
	ds_read_b32 v18, v0
	v_cmp_ge_i32_e64 s[4:5], v0, v27
	v_mov_b32_e32 v48, 4
	s_waitcnt lgkmcnt(0)
	v_readfirstlane_b32 s12, v18
	s_waitcnt vmcnt(0)
	buffer_store_dword v14, off, s[0:3], s33 offset:172 ; 4-byte Folded Spill
	v_cvt_f32_u32_e32 v14, v3
	v_rcp_iflag_f32_e32 v14, v14
	v_mul_f32_e32 v14, 0x4f7ffffe, v14
	v_cvt_u32_f32_e32 v16, v14
	v_sub_u32_e32 v14, 0, v3
	v_mul_lo_u32 v14, v14, v16
	v_mul_hi_u32 v17, v16, v14
	v_ashrrev_i32_e32 v14, 31, v7
	v_xor_b32_e32 v15, v14, v15
	v_xor_b32_e32 v5, v5, v15
	v_sub_u32_e32 v15, v5, v15
	v_mul_lo_u32 v6, v15, v6
	v_add_u32_e32 v5, v16, v17
	v_sub_u32_e32 v32, v7, v6
	v_sub_u32_e32 v6, 0, v32
	s_and_saveexec_b64 s[6:7], s[4:5]
	s_cbranch_execz .LBB2_27
; %bb.18:
	v_cmp_ge_u32_e64 s[4:5], v0, v4
                                        ; implicit-def: $vgpr48
	s_and_saveexec_b64 s[10:11], s[4:5]
	s_xor_b64 s[4:5], exec, s[10:11]
	s_cbranch_execz .LBB2_24
; %bb.19:
	v_cndmask_b32_e64 v7, 0, 1, vcc
	v_sub_u32_e32 v7, v1, v7
	v_cmp_ge_u32_e32 vcc, v0, v7
	s_and_saveexec_b64 s[10:11], vcc
	s_xor_b64 s[10:11], exec, s[10:11]
; %bb.20:
                                        ; implicit-def: $vgpr4
; %bb.21:
	s_or_saveexec_b64 s[10:11], s[10:11]
	v_mov_b32_e32 v48, 16
	s_xor_b64 exec, exec, s[10:11]
; %bb.22:
	v_sub_u32_e32 v4, v1, v4
	v_cmp_lt_i32_e32 vcc, v0, v4
	v_cndmask_b32_e64 v48, 32, 0, vcc
; %bb.23:
	s_or_b64 exec, exec, s[10:11]
.LBB2_24:
	s_andn2_saveexec_b64 s[4:5], s[4:5]
; %bb.25:
	v_mov_b32_e32 v48, 8
; %bb.26:
	s_or_b64 exec, exec, s[4:5]
.LBB2_27:
	s_or_b64 exec, exec, s[6:7]
	v_and_b32_e32 v4, 36, v48
	v_max_i32_e32 v31, v32, v6
	v_cmp_ne_u32_e32 vcc, 0, v4
	v_mov_b32_e32 v6, -1
	s_and_saveexec_b64 s[4:5], vcc
	s_cbranch_execz .LBB2_29
; %bb.28:
	s_trap 2
	ds_read_b32 v6, v0
.LBB2_29:
	s_or_b64 exec, exec, s[4:5]
	v_mad_u64_u32 v[25:26], s[4:5], v12, v5, 0
	v_mad_u64_u32 v[29:30], s[4:5], v31, v5, 0
	v_and_b32_e32 v4, 24, v48
	v_cmp_ne_u32_e64 s[4:5], 0, v4
	s_and_saveexec_b64 s[6:7], s[4:5]
	s_cbranch_execz .LBB2_31
; %bb.30:
	s_trap 2
	s_waitcnt lgkmcnt(0)
	ds_read_b32 v6, v0
.LBB2_31:
	s_or_b64 exec, exec, s[6:7]
	v_mov_b32_e32 v4, 0
	v_mov_b32_e32 v5, 0
	buffer_store_dword v4, off, s[0:3], s33 offset:160 ; 4-byte Folded Spill
	s_nop 0
	buffer_store_dword v5, off, s[0:3], s33 offset:164 ; 4-byte Folded Spill
	v_mov_b32_e32 v4, 0
	v_mov_b32_e32 v5, 0
	s_waitcnt lgkmcnt(0)
	v_ashrrev_i32_e32 v7, 31, v6
                                        ; implicit-def: $vgpr16_vgpr17
                                        ; kill: killed $vgpr16_vgpr17
                                        ; implicit-def: $vgpr49
                                        ; implicit-def: $vgpr22_vgpr23
                                        ; implicit-def: $vgpr50_vgpr51
                                        ; implicit-def: $vgpr18_vgpr19
                                        ; implicit-def: $vgpr16_vgpr17
	s_and_saveexec_b64 s[4:5], vcc
	s_cbranch_execz .LBB2_41
; %bb.32:
	s_trap 2
	ds_read_b64 v[4:5], v0
	v_lshlrev_b64 v[16:17], 3, v[6:7]
	s_waitcnt lgkmcnt(0)
	v_add_co_u32_e32 v4, vcc, v4, v16
	v_addc_co_u32_e32 v5, vcc, v5, v17, vcc
	flat_load_dwordx2 v[20:21], v[4:5]
	s_waitcnt vmcnt(0) lgkmcnt(0)
	flat_load_dword v4, v[20:21] offset:640
	s_waitcnt vmcnt(0) lgkmcnt(0)
	v_cmp_eq_u32_e32 vcc, 1, v4
                                        ; implicit-def: $vgpr4_vgpr5
                                        ; kill: killed $vgpr4_vgpr5
	s_and_saveexec_b64 s[6:7], vcc
	s_cbranch_execz .LBB2_34
; %bb.33:
	flat_load_dwordx2 v[16:17], v[20:21] offset:648
	v_or_b32_e32 v48, 0x2000, v48
	s_waitcnt vmcnt(0) lgkmcnt(0)
	flat_load_dwordx2 v[4:5], v[16:17]
	s_trap 2
	s_waitcnt vmcnt(0) lgkmcnt(0)
	ds_write_b64 v0, v[4:5]
	flat_load_dwordx2 v[4:5], v[16:17] offset:8
	s_waitcnt vmcnt(0) lgkmcnt(0)
	ds_write_b64 v0, v[4:5]
	buffer_store_dword v16, off, s[0:3], s33 offset:188 ; 4-byte Folded Spill
	s_nop 0
	buffer_store_dword v17, off, s[0:3], s33 offset:192 ; 4-byte Folded Spill
	flat_load_dwordx2 v[4:5], v[16:17] offset:16
	s_waitcnt vmcnt(0) lgkmcnt(0)
	ds_write_b64 v0, v[4:5]
.LBB2_34:
	s_or_b64 exec, exec, s[6:7]
	flat_load_dwordx2 v[4:5], v[20:21] offset:608
	v_and_b32_e32 v16, 32, v48
	s_waitcnt vmcnt(0) lgkmcnt(0)
	v_add_co_u32_e32 v4, vcc, 3, v4
	v_addc_co_u32_e32 v51, vcc, 0, v5, vcc
	v_and_b32_e32 v50, -4, v4
	v_cmp_ne_u32_e32 vcc, 0, v16
                                        ; implicit-def: $vgpr16_vgpr17
	s_and_saveexec_b64 s[6:7], vcc
	s_cbranch_execz .LBB2_36
; %bb.35:
	flat_load_dwordx2 v[16:17], v[20:21] offset:560
	s_waitcnt vmcnt(0) lgkmcnt(0)
	flat_store_dwordx2 v[16:17], v[50:51]
.LBB2_36:
	s_or_b64 exec, exec, s[6:7]
	v_add_co_u32_e32 v4, vcc, 0x1f8, v20
	v_addc_co_u32_e32 v5, vcc, 0, v21, vcc
	buffer_store_dword v4, off, s[0:3], s33 offset:160 ; 4-byte Folded Spill
	s_nop 0
	buffer_store_dword v5, off, s[0:3], s33 offset:164 ; 4-byte Folded Spill
	v_and_b32_e32 v18, 4, v48
	v_mov_b32_e32 v4, 0
	v_mov_b32_e32 v5, 0
	v_cmp_ne_u32_e32 vcc, 0, v18
                                        ; implicit-def: $vgpr49
                                        ; implicit-def: $vgpr22_vgpr23
                                        ; implicit-def: $vgpr18_vgpr19
	s_and_saveexec_b64 s[6:7], vcc
	s_cbranch_execz .LBB2_40
; %bb.37:
	v_and_b32_e32 v4, 0x800, v48
	v_cmp_eq_u32_e32 vcc, 0, v4
	s_and_saveexec_b64 s[10:11], vcc
	s_cbranch_execz .LBB2_39
; %bb.38:
	s_trap 2
	buffer_load_dword v4, off, s[0:3], s33 offset:160 ; 4-byte Folded Reload
	buffer_load_dword v5, off, s[0:3], s33 offset:164 ; 4-byte Folded Reload
	s_waitcnt vmcnt(0)
	ds_write_b64 v0, v[4:5]
.LBB2_39:
	s_or_b64 exec, exec, s[10:11]
	flat_load_dwordx2 v[16:17], v[20:21] offset:552
	s_waitcnt vmcnt(0) lgkmcnt(0)
	flat_load_dwordx2 v[22:23], v[16:17] glc
	flat_load_dwordx2 v[4:5], v[20:21] offset:600
	flat_load_dword v49, v[20:21] offset:576
	flat_load_dwordx2 v[18:19], v[20:21] offset:520
	v_or_b32_e32 v20, 0x100, v48
	s_waitcnt vmcnt(0) lgkmcnt(0)
	v_cmp_eq_u64_e32 vcc, 0, v[4:5]
	v_cndmask_b32_e32 v48, v20, v48, vcc
.LBB2_40:
	s_or_b64 exec, exec, s[6:7]
.LBB2_41:
	s_or_b64 exec, exec, s[4:5]
	v_and_b32_e32 v20, 24, v48
	v_ashrrev_i32_e32 v25, 31, v32
	v_cmp_ne_u32_e32 vcc, 0, v20
                                        ; implicit-def: $vgpr20_vgpr21
	s_and_saveexec_b64 s[4:5], vcc
	s_cbranch_execz .LBB2_49
; %bb.42:
	s_trap 2
	ds_read_b64 v[4:5], v0
	v_lshlrev_b64 v[6:7], 3, v[6:7]
	v_or_b32_e32 v20, 0x100, v48
	s_waitcnt lgkmcnt(0)
	v_add_co_u32_e32 v4, vcc, v4, v6
	v_addc_co_u32_e32 v5, vcc, v5, v7, vcc
	flat_load_dwordx2 v[4:5], v[4:5]
	s_waitcnt vmcnt(0) lgkmcnt(0)
	buffer_store_dword v4, off, s[0:3], s33 offset:160 ; 4-byte Folded Spill
	s_nop 0
	buffer_store_dword v5, off, s[0:3], s33 offset:164 ; 4-byte Folded Spill
	flat_load_dwordx4 v[4:7], v[4:5] offset:96
	s_waitcnt vmcnt(0) lgkmcnt(0)
	v_cmp_eq_u64_e32 vcc, 0, v[4:5]
	v_cndmask_b32_e32 v48, v20, v48, vcc
	v_and_b32_e32 v20, 16, v48
	v_cmp_ne_u32_e32 vcc, 0, v20
                                        ; implicit-def: $vgpr20_vgpr21
	s_and_saveexec_b64 s[6:7], vcc
	s_cbranch_execz .LBB2_44
; %bb.43:
	buffer_load_dword v18, off, s[0:3], s33 offset:160 ; 4-byte Folded Reload
	buffer_load_dword v19, off, s[0:3], s33 offset:164 ; 4-byte Folded Reload
	s_waitcnt vmcnt(0)
	flat_load_dwordx2 v[16:17], v[18:19] offset:48
	flat_load_dwordx2 v[20:21], v[18:19] offset:120
	s_nop 0
	flat_load_dwordx2 v[18:19], v[18:19] offset:16
.LBB2_44:
	s_or_b64 exec, exec, s[6:7]
	v_add_co_u32_e32 v6, vcc, 3, v6
	v_addc_co_u32_e32 v51, vcc, 0, v7, vcc
	v_and_b32_e32 v50, -4, v6
	v_and_b32_e32 v6, 8, v48
	v_cmp_ne_u32_e32 vcc, 0, v6
	s_and_saveexec_b64 s[6:7], vcc
	s_cbranch_execz .LBB2_48
; %bb.45:
	v_and_b32_e32 v6, 0x800, v48
	v_cmp_eq_u32_e32 vcc, 0, v6
	s_and_saveexec_b64 s[10:11], vcc
	s_cbranch_execz .LBB2_47
; %bb.46:
	s_trap 2
	buffer_load_dword v6, off, s[0:3], s33 offset:160 ; 4-byte Folded Reload
	buffer_load_dword v7, off, s[0:3], s33 offset:164 ; 4-byte Folded Reload
	s_waitcnt vmcnt(0)
	ds_write_b64 v0, v[6:7]
.LBB2_47:
	s_or_b64 exec, exec, s[10:11]
	buffer_load_dword v6, off, s[0:3], s33 offset:160 ; 4-byte Folded Reload
	buffer_load_dword v7, off, s[0:3], s33 offset:164 ; 4-byte Folded Reload
	s_waitcnt vmcnt(0) lgkmcnt(0)
	flat_load_dwordx2 v[16:17], v[6:7] offset:56
	s_waitcnt vmcnt(0) lgkmcnt(0)
	flat_load_dwordx2 v[22:23], v[16:17] glc
	flat_load_dword v49, v[6:7] offset:72
	flat_load_dwordx2 v[18:19], v[6:7] offset:16
.LBB2_48:
	s_or_b64 exec, exec, s[6:7]
.LBB2_49:
	s_or_b64 exec, exec, s[4:5]
	v_cmp_eq_u32_e64 s[4:5], 0, v0
	s_and_saveexec_b64 s[6:7], s[4:5]
	s_cbranch_execz .LBB2_51
; %bb.50:
	v_mov_b32_e32 v6, v10
	v_mov_b32_e32 v7, v11
	ds_write2_b64 v0, v[6:7], v[8:9] offset1:1
	v_mov_b32_e32 v6, 0
	v_mov_b32_e32 v7, v6
	s_trap 2
	ds_write_b64 v0, v[6:7]
.LBB2_51:
	s_or_b64 exec, exec, s[6:7]
	v_mov_b32_e32 v10, 0
	v_mov_b32_e32 v11, 0
	s_mov_b32 s49, -1
	s_cmp_lt_i32 s48, -1
	v_cmp_ne_u32_e64 s[6:7], 64, v1
	s_cbranch_scc1 .LBB2_616
; %bb.52:
	v_mul_lo_u32 v6, v26, v3
	v_mad_u64_u32 v[8:9], s[10:11], v33, v13, 0
	buffer_store_dword v35, off, s[0:3], s33 offset:128 ; 4-byte Folded Spill
	s_nop 0
	buffer_store_dword v36, off, s[0:3], s33 offset:132 ; 4-byte Folded Spill
	v_sub_u32_e32 v6, v12, v6
	v_sub_u32_e32 v7, v6, v3
	v_cmp_ge_u32_e32 vcc, v6, v3
	v_cndmask_b32_e32 v6, v6, v7, vcc
	v_sub_u32_e32 v7, v6, v3
	v_cmp_ge_u32_e32 vcc, v6, v3
	v_cndmask_b32_e32 v6, v6, v7, vcc
	v_xor_b32_e32 v6, v6, v14
	v_sub_u32_e32 v6, v6, v14
	v_mad_u64_u32 v[6:7], s[10:11], v15, v3, v[6:7]
	v_sub_co_u32_e32 v8, vcc, v24, v8
	v_min_i32_e32 v9, v6, v8
	v_ashrrev_i32_e32 v10, 31, v9
	v_mad_u64_u32 v[9:10], s[10:11], v33, v6, v[9:10]
	v_ashrrev_i32_e32 v7, 31, v6
	v_mul_lo_u32 v24, v33, v7
	v_mul_lo_u32 v13, v34, v6
	v_cmp_lt_i32_e32 vcc, v6, v8
	v_mul_lo_u32 v11, v9, v2
	v_mad_u64_u32 v[35:36], s[10:11], v9, v52, 0
	v_cndmask_b32_e64 v9, 0, 1, vcc
	v_add_co_u32_e32 v9, vcc, v33, v9
	v_add3_u32 v10, v13, v10, v24
	v_mul_lo_u32 v14, v9, v2
	v_mad_u64_u32 v[37:38], s[10:11], v9, v52, 0
	v_mul_lo_u32 v9, v30, v3
	v_mul_lo_u32 v10, v10, v52
	v_addc_co_u32_e32 v12, vcc, 0, v34, vcc
	v_sub_u32_e32 v9, v31, v9
	v_add3_u32 v36, v36, v11, v10
	v_add_u32_e32 v10, 1, v30
	v_cmp_ge_u32_e32 vcc, v9, v3
	v_sub_u32_e32 v11, v9, v3
	v_cndmask_b32_e32 v10, v30, v10, vcc
	v_cndmask_b32_e32 v9, v9, v11, vcc
	v_mul_lo_u32 v12, v12, v52
	v_add_u32_e32 v11, 1, v10
	v_cmp_ge_u32_e32 vcc, v9, v3
	v_cndmask_b32_e32 v3, v10, v11, vcc
	v_xor_b32_e32 v3, v3, v25
	v_mov_b32_e32 v32, 0
	v_sub_u32_e32 v29, v3, v25
	v_and_b32_e32 v9, 0x3ffffe00, v28
	v_mov_b32_e32 v10, v32
	buffer_store_dword v35, off, s[0:3], s33 offset:96 ; 4-byte Folded Spill
	s_nop 0
	buffer_store_dword v36, off, s[0:3], s33 offset:100 ; 4-byte Folded Spill
	v_add3_u32 v38, v38, v14, v12
	buffer_store_dword v9, off, s[0:3], s33 offset:76 ; 4-byte Folded Spill
	s_nop 0
	buffer_store_dword v10, off, s[0:3], s33 offset:80 ; 4-byte Folded Spill
	v_ashrrev_i32_e32 v3, 31, v29
	v_mul_lo_u32 v11, v38, v29
	v_mul_lo_u32 v3, v37, v3
	v_mad_u64_u32 v[9:10], s[10:11], v37, v29, 0
	s_ashr_i32 s13, s12, 31
	s_lshr_b32 s13, s13, 25
	v_add3_u32 v3, v10, v3, v11
	v_lshrrev_b32_e32 v10, 31, v3
	v_add_co_u32_e32 v9, vcc, v9, v10
	v_addc_co_u32_e32 v10, vcc, 0, v3, vcc
	v_ashrrev_i64 v[9:10], 1, v[9:10]
	buffer_store_dword v9, off, s[0:3], s33 offset:112 ; 4-byte Folded Spill
	s_nop 0
	buffer_store_dword v10, off, s[0:3], s33 offset:116 ; 4-byte Folded Spill
	v_lshrrev_b32_e32 v3, 31, v38
	v_add_co_u32_e32 v9, vcc, v37, v3
	v_addc_co_u32_e32 v10, vcc, 0, v38, vcc
	v_ashrrev_i64 v[25:26], 1, v[9:10]
	v_ashrrev_i32_e32 v9, 31, v8
	v_sub_co_u32_e32 v28, vcc, v37, v25
	buffer_store_dword v37, off, s[0:3], s33 offset:104 ; 4-byte Folded Spill
	s_nop 0
	buffer_store_dword v38, off, s[0:3], s33 offset:108 ; 4-byte Folded Spill
	v_ashrrev_i32_e32 v3, 31, v0
	s_add_i32 s12, s12, s13
	s_abs_i32 s52, s48
	v_lshrrev_b32_e32 v3, 26, v3
	s_ashr_i32 s51, s12, 7
	v_add_u32_e32 v3, v0, v3
	v_ashrrev_i32_e32 v36, 6, v3
	v_and_b32_e32 v3, 0xffffffc0, v3
	v_sub_u32_e32 v12, v0, v3
	v_cmp_lt_i32_e64 s[14:15], v12, v27
	v_lshlrev_b32_e32 v3, 4, v12
	v_cmp_eq_u32_e64 s[22:23], 0, v29
	v_lshrrev_b32_e32 v31, 6, v1
	v_cmp_eq_u32_e64 s[16:17], 64, v1
	s_sub_i32 s26, 0, s52
	s_lshr_b32 s10, s48, 31
	s_mov_b32 s27, 0
	s_add_i32 s10, s48, s10
	s_waitcnt vmcnt(0) lgkmcnt(0)
	v_cmp_ne_u64_e64 s[20:21], 0, v[20:21]
	s_ashr_i32 s50, s10, 1
	v_cmp_gt_i32_e64 s[10:11], 1, v12
	v_ashrrev_i32_e32 v37, 31, v36
	v_lshlrev_b32_e32 v14, 11, v31
	v_lshlrev_b32_e32 v15, 10, v31
	v_lshlrev_b32_e32 v34, 9, v31
	v_ashrrev_i32_e32 v35, 31, v49
	s_movk_i32 s54, 0x108
	v_subb_co_u32_e32 v30, vcc, v38, v26, vcc
	v_cmp_lt_i64_e32 vcc, v[6:7], v[8:9]
	v_lshl_add_u32 v38, v36, 11, v3
	v_cndmask_b32_e32 v9, v9, v7, vcc
	buffer_load_dword v7, off, s[0:3], s33 offset:168 ; 4-byte Folded Reload
	s_trap 2
	buffer_load_dword v10, off, s[0:3], s33 offset:172 ; 4-byte Folded Reload
	v_cndmask_b32_e32 v8, v8, v6, vcc
	v_and_b32_e32 v3, 0x3fc0, v1
	v_cmp_ge_i32_e32 vcc, v0, v1
	buffer_store_dword v1, off, s[0:3], s33 offset:184 ; 4-byte Folded Spill
	v_ashrrev_i32_e32 v39, 31, v38
	s_waitcnt vmcnt(2)
	v_and_b32_e32 v7, 63, v7
	v_cmp_eq_u32_e64 s[12:13], 0, v7
	v_cvt_f32_u32_e32 v7, s52
	s_waitcnt vmcnt(1)
	v_cmp_ne_u32_sdwa s[28:29], v1, v10 src0_sel:DWORD src1_sel:WORD_0
	v_cndmask_b32_e64 v1, v30, v26, s[22:23]
	buffer_store_dword v1, off, s[0:3], s33 offset:120 ; 4-byte Folded Spill
	v_rcp_iflag_f32_e32 v27, v7
	v_mad_u64_u32 v[6:7], s[18:19], v33, v6, v[8:9]
	v_cndmask_b32_e64 v1, v28, v25, s[22:23]
	v_mul_f32_e32 v8, 0x4f7ffffe, v27
	v_cvt_u32_f32_e32 v8, v8
	v_add3_u32 v7, v13, v7, v24
	v_mul_lo_u32 v2, v6, v2
	v_mul_lo_u32 v7, v7, v52
	v_readfirstlane_b32 s40, v8
	v_mad_u64_u32 v[8:9], s[22:23], v6, v52, 0
	s_mul_i32 s26, s26, s40
	v_mov_b32_e32 v10, 0
	v_cmp_eq_u64_e64 s[18:19], 0, v[20:21]
	s_mul_hi_u32 s22, s40, s26
	v_mov_b32_e32 v11, 0
	buffer_store_dword v1, off, s[0:3], s33 offset:124 ; 4-byte Folded Spill
	s_add_i32 s53, s40, s22
	v_add3_u32 v9, v9, v2, v7
	s_xor_b64 s[40:41], vcc, -1
	v_mov_b32_e32 v1, 1
	v_mov_b32_e32 v2, 0xc8
	;; [unrolled: 1-line block ×3, first 2 shown]
	s_mov_b32 s26, s27
	buffer_store_dword v8, off, s[0:3], s33 offset:176 ; 4-byte Folded Spill
	s_nop 0
	buffer_store_dword v9, off, s[0:3], s33 offset:180 ; 4-byte Folded Spill
.LBB2_53:                               ; =>This Loop Header: Depth=1
                                        ;     Child Loop BB2_61 Depth 2
                                        ;     Child Loop BB2_68 Depth 2
	;; [unrolled: 1-line block ×5, first 2 shown]
                                        ;       Child Loop BB2_93 Depth 3
                                        ;         Child Loop BB2_101 Depth 4
                                        ;         Child Loop BB2_125 Depth 4
	;; [unrolled: 1-line block ×8, first 2 shown]
                                        ;       Child Loop BB2_213 Depth 3
                                        ;         Child Loop BB2_219 Depth 4
                                        ;         Child Loop BB2_243 Depth 4
                                        ;       Child Loop BB2_265 Depth 3
                                        ;         Child Loop BB2_268 Depth 4
                                        ;           Child Loop BB2_276 Depth 5
                                        ;           Child Loop BB2_304 Depth 5
	;; [unrolled: 1-line block ×8, first 2 shown]
                                        ;         Child Loop BB2_393 Depth 4
                                        ;           Child Loop BB2_399 Depth 5
                                        ;           Child Loop BB2_427 Depth 5
                                        ;       Child Loop BB2_447 Depth 3
                                        ;         Child Loop BB2_455 Depth 4
                                        ;         Child Loop BB2_479 Depth 4
	;; [unrolled: 1-line block ×8, first 2 shown]
                                        ;       Child Loop BB2_566 Depth 3
                                        ;         Child Loop BB2_572 Depth 4
                                        ;         Child Loop BB2_596 Depth 4
	s_sub_i32 s22, s48, s26
	s_ashr_i32 s23, s22, 31
	s_abs_i32 s22, s22
	s_mul_hi_u32 s42, s22, s53
	s_mul_i32 s42, s42, s52
	s_sub_i32 s22, s22, s42
	s_sub_i32 s42, s22, s52
	s_cmp_ge_u32 s22, s52
	s_cselect_b32 s22, s42, s22
	s_sub_i32 s42, s22, s52
	s_cmp_ge_u32 s22, s52
	s_trap 2
	ds_read_b64 v[6:7], v0
	s_cselect_b32 s22, s42, s22
	s_xor_b32 s22, s22, s23
	s_sub_i32 s22, s22, s23
	s_ashr_i32 s23, s22, 31
	s_lshl_b64 s[22:23], s[22:23], 2
	s_waitcnt lgkmcnt(0)
	v_add_co_u32_e32 v8, vcc, s22, v6
	v_mov_b32_e32 v9, s23
	v_addc_co_u32_e32 v9, vcc, v7, v9, vcc
	s_lshl_b64 s[22:23], s[26:27], 2
	flat_load_dword v8, v[8:9]
	v_add_co_u32_e32 v6, vcc, s22, v6
	v_mov_b32_e32 v9, s23
	v_addc_co_u32_e32 v7, vcc, v7, v9, vcc
	flat_load_dword v6, v[6:7]
	s_cmp_lg_u32 s26, 0
	buffer_load_dword v13, off, s[0:3], s33 offset:88 ; 4-byte Folded Reload
	buffer_load_dword v24, off, s[0:3], s33 offset:92 ; 4-byte Folded Reload
	buffer_load_dword v27, off, s[0:3], s33 offset:96 ; 4-byte Folded Reload
	buffer_load_dword v28, off, s[0:3], s33 offset:100 ; 4-byte Folded Reload
	buffer_load_dword v29, off, s[0:3], s33 offset:112 ; 4-byte Folded Reload
	buffer_load_dword v30, off, s[0:3], s33 offset:116 ; 4-byte Folded Reload
	s_waitcnt vmcnt(0) lgkmcnt(0)
	v_ashrrev_i32_e32 v7, 31, v6
	v_mul_lo_u32 v7, v13, v7
	v_mul_lo_u32 v9, v24, v6
	v_mad_u64_u32 v[40:41], s[22:23], v13, v6, 0
	v_add3_u32 v41, v41, v7, v9
	v_add_co_u32_e32 v7, vcc, v40, v27
	v_addc_co_u32_e32 v9, vcc, v41, v28, vcc
	v_cmp_eq_u32_e32 vcc, v8, v6
	v_cndmask_b32_e32 v33, 0, v29, vcc
	v_cndmask_b32_e32 v25, 0, v30, vcc
	v_add_co_u32_e64 v52, s[22:23], v7, v33
	v_addc_co_u32_e64 v6, s[22:23], v9, v25, s[22:23]
	buffer_store_dword v6, off, s[0:3], s33 offset:60 ; 4-byte Folded Spill
	v_ashrrev_i32_e32 v6, 31, v8
	v_mul_lo_u32 v6, v13, v6
	v_mul_lo_u32 v7, v24, v8
	v_mad_u64_u32 v[54:55], s[22:23], v13, v8, 0
	v_add3_u32 v55, v55, v6, v7
	v_add_co_u32_e64 v6, s[22:23], v54, v27
	v_addc_co_u32_e64 v7, s[22:23], v55, v28, s[22:23]
	v_add_co_u32_e64 v6, s[22:23], v6, v33
	buffer_store_dword v6, off, s[0:3], s33 offset:72 ; 4-byte Folded Spill
	v_addc_co_u32_e64 v6, s[22:23], v7, v25, s[22:23]
	buffer_store_dword v6, off, s[0:3], s33 offset:84 ; 4-byte Folded Spill
	buffer_load_dword v6, off, s[0:3], s33 offset:104 ; 4-byte Folded Reload
	s_nop 0
	buffer_load_dword v7, off, s[0:3], s33 offset:108 ; 4-byte Folded Reload
	buffer_load_dword v8, off, s[0:3], s33 offset:120 ; 4-byte Folded Reload
	s_cselect_b64 s[22:23], -1, 0
	s_waitcnt vmcnt(0)
	v_cndmask_b32_e32 v45, v7, v8, vcc
	buffer_load_dword v7, off, s[0:3], s33 offset:124 ; 4-byte Folded Reload
	s_waitcnt vmcnt(0)
	v_cndmask_b32_e32 v44, v6, v7, vcc
	s_and_b64 vcc, exec, s[22:23]
	buffer_store_dword v44, off, s[0:3], s33 offset:64 ; 4-byte Folded Spill
	s_nop 0
	buffer_store_dword v45, off, s[0:3], s33 offset:68 ; 4-byte Folded Spill
	s_cbranch_vccnz .LBB2_84
; %bb.54:                               ;   in Loop: Header=BB2_53 Depth=1
	buffer_load_dword v6, off, s[0:3], s33 offset:128 ; 4-byte Folded Reload
	buffer_load_dword v7, off, s[0:3], s33 offset:132 ; 4-byte Folded Reload
	s_mov_b64 s[22:23], -1
	s_waitcnt vmcnt(0)
	flat_load_dwordx4 v[27:30], v[6:7] offset:16
	s_waitcnt vmcnt(0) lgkmcnt(0)
	v_cmp_ne_u64_e32 vcc, v[29:30], v[27:28]
	s_and_saveexec_b64 s[42:43], vcc
	s_cbranch_execz .LBB2_83
; %bb.55:                               ;   in Loop: Header=BB2_53 Depth=1
	s_mov_b64 s[44:45], 0
	s_and_saveexec_b64 s[22:23], s[10:11]
	s_cbranch_execz .LBB2_57
; %bb.56:                               ;   in Loop: Header=BB2_53 Depth=1
	buffer_load_dword v7, off, s[0:3], s33 offset:72 ; 4-byte Folded Reload
	v_add_u32_e32 v6, v29, v52
	s_waitcnt vmcnt(0)
	v_add_u32_e32 v7, v27, v7
	v_or_b32_e32 v6, v6, v7
	v_and_b32_e32 v6, 15, v6
	v_cmp_ne_u32_e32 vcc, 0, v6
	s_and_b64 s[44:45], vcc, exec
.LBB2_57:                               ;   in Loop: Header=BB2_53 Depth=1
	s_or_b64 exec, exec, s[22:23]
	v_cndmask_b32_e64 v6, 0, 1, s[44:45]
	v_cmp_ne_u32_e32 vcc, 0, v6
	s_cbranch_vccz .LBB2_59
; %bb.58:                               ;   in Loop: Header=BB2_53 Depth=1
	v_mov_b32_e32 v6, 0
	v_mov_b32_e32 v7, 0
	;; [unrolled: 1-line block ×3, first 2 shown]
	s_mov_b64 s[22:23], -1
	buffer_store_dword v6, off, s[0:3], s33 offset:136 ; 4-byte Folded Spill
	s_nop 0
	buffer_store_dword v7, off, s[0:3], s33 offset:140 ; 4-byte Folded Spill
	v_mov_b32_e32 v61, v0
	v_mov_b32_e32 v56, v36
	;; [unrolled: 1-line block ×3, first 2 shown]
	s_and_saveexec_b64 s[44:45], s[22:23]
	s_cbranch_execnz .LBB2_74
	s_branch .LBB2_82
.LBB2_59:                               ;   in Loop: Header=BB2_53 Depth=1
	v_ashrrev_i32_e32 v6, 31, v45
	v_lshrrev_b32_e32 v6, 21, v6
	v_add_co_u32_e32 v6, vcc, v44, v6
	v_addc_co_u32_e32 v7, vcc, 0, v45, vcc
	v_ashrrev_i64 v[42:43], 11, v[6:7]
	v_sub_co_u32_e32 v46, vcc, v42, v36
	v_subb_co_u32_e32 v47, vcc, v43, v37, vcc
	v_cmp_lt_i64_e32 vcc, 0, v[46:47]
	s_and_saveexec_b64 s[22:23], vcc
	s_cbranch_execz .LBB2_63
; %bb.60:                               ;   in Loop: Header=BB2_53 Depth=1
	buffer_load_dword v6, off, s[0:3], s33 offset:176 ; 4-byte Folded Reload
	buffer_load_dword v7, off, s[0:3], s33 offset:180 ; 4-byte Folded Reload
	s_mov_b64 s[44:45], 0
	s_waitcnt vmcnt(1)
	v_add_co_u32_e32 v6, vcc, v6, v33
	s_waitcnt vmcnt(0)
	v_addc_co_u32_e32 v7, vcc, v7, v25, vcc
	v_add_co_u32_e32 v8, vcc, v6, v29
	v_addc_co_u32_e32 v9, vcc, v7, v30, vcc
	v_add_co_u32_e32 v24, vcc, v8, v40
	;; [unrolled: 2-line block ×3, first 2 shown]
	buffer_store_dword v27, off, s[0:3], s33 offset:144 ; 4-byte Folded Spill
	s_nop 0
	buffer_store_dword v28, off, s[0:3], s33 offset:148 ; 4-byte Folded Spill
	buffer_store_dword v29, off, s[0:3], s33 offset:152 ; 4-byte Folded Spill
	;; [unrolled: 1-line block ×3, first 2 shown]
	v_addc_co_u32_e32 v7, vcc, v7, v28, vcc
	v_add_co_u32_e32 v45, vcc, v6, v54
	v_addc_co_u32_e32 v56, vcc, v7, v55, vcc
.LBB2_61:                               ;   Parent Loop BB2_53 Depth=1
                                        ; =>  This Inner Loop Header: Depth=2
	v_add_co_u32_e32 v6, vcc, v38, v24
	v_addc_co_u32_e32 v7, vcc, v39, v44, vcc
	global_load_dwordx4 v[57:60], v[6:7], off glc slc
	s_nop 0
	global_load_dwordx4 v[6:9], v[6:7], off offset:1024 glc slc
	v_add_co_u32_e32 v27, vcc, v38, v45
	v_addc_co_u32_e32 v28, vcc, v39, v56, vcc
	v_sub_co_u32_e32 v46, vcc, v46, v31
	v_subbrev_co_u32_e32 v47, vcc, 0, v47, vcc
	v_add_co_u32_e32 v24, vcc, v24, v14
	v_addc_co_u32_e32 v44, vcc, 0, v44, vcc
	v_add_co_u32_e32 v45, vcc, v45, v14
	v_addc_co_u32_e32 v56, vcc, 0, v56, vcc
	v_cmp_gt_i64_e32 vcc, 1, v[46:47]
	s_waitcnt vmcnt(1)
	global_store_dwordx4 v[27:28], v[57:60], off glc slc
	s_waitcnt vmcnt(1)
	global_store_dwordx4 v[27:28], v[6:9], off offset:1024 glc slc
	s_or_b64 s[44:45], vcc, s[44:45]
	s_andn2_b64 exec, exec, s[44:45]
	s_cbranch_execnz .LBB2_61
; %bb.62:                               ;   in Loop: Header=BB2_53 Depth=1
	s_or_b64 exec, exec, s[44:45]
	buffer_load_dword v27, off, s[0:3], s33 offset:144 ; 4-byte Folded Reload
	buffer_load_dword v28, off, s[0:3], s33 offset:148 ; 4-byte Folded Reload
	;; [unrolled: 1-line block ×4, first 2 shown]
.LBB2_63:                               ;   in Loop: Header=BB2_53 Depth=1
	s_or_b64 exec, exec, s[22:23]
	buffer_load_dword v6, off, s[0:3], s33 offset:64 ; 4-byte Folded Reload
	buffer_load_dword v7, off, s[0:3], s33 offset:68 ; 4-byte Folded Reload
	v_lshlrev_b64 v[57:58], 11, v[42:43]
	s_mov_b64 s[22:23], 0
                                        ; implicit-def: $vgpr44_vgpr45
                                        ; implicit-def: $vgpr61
                                        ; implicit-def: $vgpr56
                                        ; implicit-def: $vgpr59_vgpr60
	s_waitcnt vmcnt(0)
	v_cmp_ne_u64_e32 vcc, v[6:7], v[57:58]
	v_mov_b32_e32 v6, 0
	v_mov_b32_e32 v7, 0
	buffer_store_dword v6, off, s[0:3], s33 offset:136 ; 4-byte Folded Spill
	s_nop 0
	buffer_store_dword v7, off, s[0:3], s33 offset:140 ; 4-byte Folded Spill
	s_and_saveexec_b64 s[44:45], vcc
	s_cbranch_execz .LBB2_73
; %bb.64:                               ;   in Loop: Header=BB2_53 Depth=1
	buffer_load_dword v6, off, s[0:3], s33 offset:64 ; 4-byte Folded Reload
	buffer_load_dword v7, off, s[0:3], s33 offset:68 ; 4-byte Folded Reload
	s_waitcnt vmcnt(1)
	v_sub_co_u32_e32 v24, vcc, v6, v57
	s_waitcnt vmcnt(0)
	v_subb_co_u32_e32 v42, vcc, v7, v58, vcc
	v_ashrrev_i32_e32 v6, 31, v42
	v_lshrrev_b32_e32 v6, 22, v6
	v_add_co_u32_e32 v6, vcc, v24, v6
	v_addc_co_u32_e32 v7, vcc, 0, v42, vcc
	v_ashrrev_i64 v[61:62], 10, v[6:7]
	v_and_b32_e32 v6, 0xfffffc00, v6
	v_add_co_u32_e32 v8, vcc, v6, v57
	v_addc_co_u32_e32 v9, vcc, v7, v58, vcc
	v_sub_co_u32_e32 v44, vcc, v24, v6
	v_subb_co_u32_e32 v45, vcc, v42, v7, vcc
	v_cmp_lt_i64_e32 vcc, 15, v[44:45]
	buffer_store_dword v8, off, s[0:3], s33 offset:136 ; 4-byte Folded Spill
	s_nop 0
	buffer_store_dword v9, off, s[0:3], s33 offset:140 ; 4-byte Folded Spill
	s_and_saveexec_b64 s[22:23], vcc
	s_cbranch_execz .LBB2_66
; %bb.65:                               ;   in Loop: Header=BB2_53 Depth=1
	buffer_load_dword v6, off, s[0:3], s33 offset:64 ; 4-byte Folded Reload
	buffer_load_dword v7, off, s[0:3], s33 offset:68 ; 4-byte Folded Reload
	v_add_co_u32_e32 v61, vcc, 1, v61
	v_addc_co_u32_e32 v62, vcc, 0, v62, vcc
	s_waitcnt vmcnt(0)
	v_mov_b32_e32 v7, v32
	v_and_b32_e32 v6, 15, v6
	v_sub_co_u32_e32 v8, vcc, v44, v6
	buffer_load_dword v43, off, s[0:3], s33 offset:136 ; 4-byte Folded Reload
	buffer_load_dword v44, off, s[0:3], s33 offset:140 ; 4-byte Folded Reload
	v_subbrev_co_u32_e32 v9, vcc, 0, v45, vcc
	s_waitcnt vmcnt(1)
	v_add_co_u32_e32 v43, vcc, v8, v43
	s_waitcnt vmcnt(0)
	v_addc_co_u32_e32 v44, vcc, v9, v44, vcc
	buffer_store_dword v43, off, s[0:3], s33 offset:136 ; 4-byte Folded Spill
	s_nop 0
	buffer_store_dword v44, off, s[0:3], s33 offset:140 ; 4-byte Folded Spill
	v_mov_b32_e32 v45, v7
	v_mov_b32_e32 v44, v6
.LBB2_66:                               ;   in Loop: Header=BB2_53 Depth=1
	s_or_b64 exec, exec, s[22:23]
	v_lshlrev_b32_e32 v6, 6, v46
	v_sub_u32_e32 v6, v12, v6
	v_ashrrev_i32_e32 v7, 31, v6
	v_lshrrev_b32_e32 v7, 26, v7
	v_add_u32_e32 v7, v6, v7
	v_ashrrev_i32_e32 v8, 6, v7
	v_and_b32_e32 v7, 0xffffffc0, v7
	v_sub_u32_e32 v13, v6, v7
	v_lshlrev_b32_e32 v6, 4, v13
	v_lshl_add_u32 v43, v8, 10, v6
	v_ashrrev_i32_e32 v56, 31, v43
	v_sub_co_u32_e32 v59, vcc, v24, v43
	v_subb_co_u32_e32 v60, vcc, v42, v56, vcc
	v_ashrrev_i32_e32 v6, 31, v8
	v_sub_co_u32_e32 v46, vcc, v61, v8
	v_subb_co_u32_e32 v47, vcc, v62, v6, vcc
	v_cmp_lt_i64_e32 vcc, 15, v[59:60]
	s_and_saveexec_b64 s[46:47], vcc
	s_cbranch_execz .LBB2_70
; %bb.67:                               ;   in Loop: Header=BB2_53 Depth=1
	buffer_load_dword v6, off, s[0:3], s33 offset:96 ; 4-byte Folded Reload
	buffer_load_dword v7, off, s[0:3], s33 offset:100 ; 4-byte Folded Reload
	v_add_co_u32_e32 v24, vcc, v29, v40
	v_addc_co_u32_e32 v42, vcc, v30, v41, vcc
	s_mov_b64 s[56:57], 0
	s_waitcnt vmcnt(1)
	v_add_co_u32_e32 v6, vcc, v6, v33
	s_waitcnt vmcnt(0)
	v_addc_co_u32_e32 v7, vcc, v7, v25, vcc
	v_add_co_u32_e32 v6, vcc, v6, v57
	v_addc_co_u32_e32 v7, vcc, v7, v58, vcc
	v_add_co_u32_e32 v43, vcc, v6, v43
	;; [unrolled: 2-line block ×3, first 2 shown]
	buffer_store_dword v27, off, s[0:3], s33 offset:144 ; 4-byte Folded Spill
	s_nop 0
	buffer_store_dword v28, off, s[0:3], s33 offset:148 ; 4-byte Folded Spill
	buffer_store_dword v29, off, s[0:3], s33 offset:152 ; 4-byte Folded Spill
	;; [unrolled: 1-line block ×3, first 2 shown]
	v_addc_co_u32_e32 v58, vcc, v28, v55, vcc
.LBB2_68:                               ;   Parent Loop BB2_53 Depth=1
                                        ; =>  This Inner Loop Header: Depth=2
	v_add_co_u32_e32 v6, vcc, v24, v43
	v_addc_co_u32_e32 v7, vcc, v42, v56, vcc
	global_load_dwordx4 v[6:9], v[6:7], off glc slc
	v_add_co_u32_e32 v27, vcc, v57, v43
	v_addc_co_u32_e32 v28, vcc, v58, v56, vcc
	v_sub_co_u32_e32 v59, vcc, v59, v15
	v_subbrev_co_u32_e32 v60, vcc, 0, v60, vcc
	v_sub_co_u32_e32 v46, vcc, v46, v31
	v_subbrev_co_u32_e32 v47, vcc, 0, v47, vcc
	v_cmp_gt_i64_e64 s[22:23], 16, v[59:60]
	v_add_co_u32_e32 v43, vcc, v43, v15
	v_addc_co_u32_e32 v56, vcc, 0, v56, vcc
	s_or_b64 s[56:57], s[22:23], s[56:57]
	s_waitcnt vmcnt(0)
	global_store_dwordx4 v[27:28], v[6:9], off glc slc
	s_andn2_b64 exec, exec, s[56:57]
	s_cbranch_execnz .LBB2_68
; %bb.69:                               ;   in Loop: Header=BB2_53 Depth=1
	s_or_b64 exec, exec, s[56:57]
	buffer_load_dword v27, off, s[0:3], s33 offset:144 ; 4-byte Folded Reload
	buffer_load_dword v28, off, s[0:3], s33 offset:148 ; 4-byte Folded Reload
	;; [unrolled: 1-line block ×4, first 2 shown]
.LBB2_70:                               ;   in Loop: Header=BB2_53 Depth=1
	s_or_b64 exec, exec, s[46:47]
	v_cmp_ne_u64_e32 vcc, 0, v[44:45]
	s_mov_b64 s[46:47], 0
                                        ; implicit-def: $vgpr61
                                        ; implicit-def: $vgpr56
                                        ; implicit-def: $vgpr59_vgpr60
	s_and_saveexec_b64 s[22:23], vcc
	s_cbranch_execz .LBB2_72
; %bb.71:                               ;   in Loop: Header=BB2_53 Depth=1
	v_cmp_lt_i64_e32 vcc, 0, v[46:47]
	s_mov_b64 s[46:47], exec
	v_cndmask_b32_e32 v6, 0, v31, vcc
	v_sub_u32_e32 v6, v6, v46
	v_lshl_add_u32 v61, v6, 6, v13
	v_ashrrev_i32_e32 v6, 31, v61
	v_lshrrev_b32_e32 v6, 26, v6
	v_add_u32_e32 v6, v61, v6
	v_ashrrev_i32_e32 v56, 6, v6
	v_ashrrev_i32_e32 v57, 31, v56
	v_mov_b32_e32 v60, v57
	v_mov_b32_e32 v59, v56
.LBB2_72:                               ;   in Loop: Header=BB2_53 Depth=1
	s_or_b64 exec, exec, s[22:23]
	s_and_b64 s[22:23], s[46:47], exec
.LBB2_73:                               ;   in Loop: Header=BB2_53 Depth=1
	s_or_b64 exec, exec, s[44:45]
	s_and_saveexec_b64 s[44:45], s[22:23]
	s_cbranch_execz .LBB2_82
.LBB2_74:                               ;   in Loop: Header=BB2_53 Depth=1
	v_ashrrev_i32_e32 v6, 31, v45
	v_lshrrev_b32_e32 v6, 23, v6
	v_add_co_u32_e32 v6, vcc, v44, v6
	v_addc_co_u32_e32 v7, vcc, 0, v45, vcc
	v_ashrrev_i64 v[57:58], 9, v[6:7]
	v_ashrrev_i32_e32 v6, 31, v61
	v_sub_co_u32_e32 v46, vcc, v57, v59
	v_subb_co_u32_e32 v47, vcc, v58, v60, vcc
	v_cmp_lt_i64_e32 vcc, 0, v[46:47]
	v_lshrrev_b32_e32 v13, 26, v6
	s_and_saveexec_b64 s[22:23], vcc
	s_cbranch_execz .LBB2_78
; %bb.75:                               ;   in Loop: Header=BB2_53 Depth=1
	v_add_u32_e32 v6, v61, v13
	v_and_b32_e32 v6, 0xffffffc0, v6
	v_sub_u32_e32 v6, v61, v6
	v_lshl_add_u32 v56, v56, 9, v6
	buffer_load_dword v6, off, s[0:3], s33 offset:96 ; 4-byte Folded Reload
	buffer_load_dword v7, off, s[0:3], s33 offset:100 ; 4-byte Folded Reload
	;; [unrolled: 1-line block ×4, first 2 shown]
	v_ashrrev_i32_e32 v60, 31, v56
	s_mov_b64 s[46:47], 0
	s_waitcnt vmcnt(3)
	v_add_co_u32_e32 v6, vcc, v6, v33
	s_waitcnt vmcnt(2)
	v_addc_co_u32_e32 v7, vcc, v7, v25, vcc
	s_waitcnt vmcnt(1)
	v_add_co_u32_e32 v6, vcc, v6, v8
	s_waitcnt vmcnt(0)
	v_addc_co_u32_e32 v7, vcc, v7, v9, vcc
	v_add_co_u32_e32 v8, vcc, v6, v29
	v_addc_co_u32_e32 v9, vcc, v7, v30, vcc
	v_add_co_u32_e32 v62, vcc, v8, v40
	v_addc_co_u32_e32 v42, vcc, v9, v41, vcc
	v_add_co_u32_e32 v6, vcc, v6, v27
	buffer_store_dword v27, off, s[0:3], s33 offset:144 ; 4-byte Folded Spill
	s_nop 0
	buffer_store_dword v28, off, s[0:3], s33 offset:148 ; 4-byte Folded Spill
	buffer_store_dword v29, off, s[0:3], s33 offset:152 ; 4-byte Folded Spill
	buffer_store_dword v30, off, s[0:3], s33 offset:156 ; 4-byte Folded Spill
	v_addc_co_u32_e32 v7, vcc, v7, v28, vcc
	v_add_co_u32_e32 v43, vcc, v6, v54
	v_addc_co_u32_e32 v24, vcc, v7, v55, vcc
.LBB2_76:                               ;   Parent Loop BB2_53 Depth=1
                                        ; =>  This Inner Loop Header: Depth=2
	v_add_co_u32_e32 v6, vcc, v56, v62
	v_addc_co_u32_e32 v7, vcc, v60, v42, vcc
	flat_load_ubyte v8, v[6:7] glc slc
	flat_load_ubyte v9, v[6:7] offset:64 glc slc
	flat_load_ubyte v27, v[6:7] offset:128 glc slc
	;; [unrolled: 1-line block ×7, first 2 shown]
	v_add_co_u32_e32 v6, vcc, v56, v43
	v_addc_co_u32_e32 v7, vcc, v60, v24, vcc
	v_sub_co_u32_e32 v46, vcc, v46, v31
	v_subbrev_co_u32_e32 v47, vcc, 0, v47, vcc
	v_add_co_u32_e32 v62, vcc, v62, v34
	v_addc_co_u32_e32 v42, vcc, 0, v42, vcc
	v_add_co_u32_e32 v43, vcc, v43, v34
	v_addc_co_u32_e32 v24, vcc, 0, v24, vcc
	v_cmp_gt_i64_e32 vcc, 1, v[46:47]
	s_waitcnt vmcnt(0) lgkmcnt(0)
	flat_store_byte v[6:7], v8 glc slc
	flat_store_byte v[6:7], v9 offset:64 glc slc
	flat_store_byte v[6:7], v27 offset:128 glc slc
	;; [unrolled: 1-line block ×7, first 2 shown]
	s_or_b64 s[46:47], vcc, s[46:47]
	s_andn2_b64 exec, exec, s[46:47]
	s_cbranch_execnz .LBB2_76
; %bb.77:                               ;   in Loop: Header=BB2_53 Depth=1
	s_or_b64 exec, exec, s[46:47]
	buffer_load_dword v27, off, s[0:3], s33 offset:144 ; 4-byte Folded Reload
	buffer_load_dword v28, off, s[0:3], s33 offset:148 ; 4-byte Folded Reload
	;; [unrolled: 1-line block ×4, first 2 shown]
.LBB2_78:                               ;   in Loop: Header=BB2_53 Depth=1
	s_or_b64 exec, exec, s[22:23]
	v_lshlrev_b64 v[56:57], 9, v[57:58]
	v_cmp_ne_u64_e32 vcc, v[44:45], v[56:57]
	s_and_b64 exec, exec, vcc
	s_cbranch_execz .LBB2_82
; %bb.79:                               ;   in Loop: Header=BB2_53 Depth=1
	v_add_u32_e32 v6, v61, v13
	v_and_b32_e32 v6, 0xffffffc0, v6
	v_sub_u32_e32 v6, v61, v6
	v_lshlrev_b32_e32 v7, 6, v46
	v_sub_u32_e32 v24, v6, v7
	v_ashrrev_i32_e32 v42, 31, v24
	v_add_co_u32_e32 v6, vcc, v56, v24
	v_addc_co_u32_e32 v7, vcc, v57, v42, vcc
	v_sub_co_u32_e32 v44, vcc, v44, v6
	v_subb_co_u32_e32 v45, vcc, v45, v7, vcc
	v_cmp_lt_i64_e32 vcc, 0, v[44:45]
	s_and_b64 exec, exec, vcc
	s_cbranch_execz .LBB2_82
; %bb.80:                               ;   in Loop: Header=BB2_53 Depth=1
	buffer_load_dword v6, off, s[0:3], s33 offset:96 ; 4-byte Folded Reload
	buffer_load_dword v7, off, s[0:3], s33 offset:100 ; 4-byte Folded Reload
	s_waitcnt vmcnt(0)
	v_add_co_u32_e32 v8, vcc, v29, v40
	v_addc_co_u32_e32 v9, vcc, v30, v41, vcc
	buffer_load_dword v29, off, s[0:3], s33 offset:136 ; 4-byte Folded Reload
	buffer_load_dword v30, off, s[0:3], s33 offset:140 ; 4-byte Folded Reload
	s_mov_b64 s[46:47], 0
	v_add_co_u32_e32 v6, vcc, v6, v33
	v_addc_co_u32_e32 v7, vcc, v7, v25, vcc
	s_waitcnt vmcnt(0)
	v_add_co_u32_e32 v6, vcc, v6, v29
	v_addc_co_u32_e32 v7, vcc, v7, v30, vcc
	v_add_co_u32_e32 v6, vcc, v6, v56
	v_addc_co_u32_e32 v7, vcc, v7, v57, vcc
	;; [unrolled: 2-line block ×4, first 2 shown]
.LBB2_81:                               ;   Parent Loop BB2_53 Depth=1
                                        ; =>  This Inner Loop Header: Depth=2
	v_add_co_u32_e32 v27, vcc, v8, v24
	v_addc_co_u32_e32 v28, vcc, v9, v25, vcc
	flat_load_ubyte v29, v[27:28] glc slc
	v_add_co_u32_e32 v27, vcc, v6, v24
	v_addc_co_u32_e32 v28, vcc, v7, v25, vcc
	v_sub_co_u32_e32 v44, vcc, v44, v3
	v_subbrev_co_u32_e32 v45, vcc, 0, v45, vcc
	v_cmp_gt_i64_e64 s[22:23], 1, v[44:45]
	v_add_co_u32_e32 v24, vcc, v24, v3
	v_addc_co_u32_e32 v25, vcc, 0, v25, vcc
	s_or_b64 s[46:47], s[22:23], s[46:47]
	s_waitcnt vmcnt(0) lgkmcnt(0)
	flat_store_byte v[27:28], v29 glc slc
	s_andn2_b64 exec, exec, s[46:47]
	s_cbranch_execnz .LBB2_81
.LBB2_82:                               ;   in Loop: Header=BB2_53 Depth=1
	s_or_b64 exec, exec, s[44:45]
	buffer_load_dword v44, off, s[0:3], s33 offset:64 ; 4-byte Folded Reload
	buffer_load_dword v45, off, s[0:3], s33 offset:68 ; 4-byte Folded Reload
	s_xor_b64 s[22:23], exec, -1
.LBB2_83:                               ;   in Loop: Header=BB2_53 Depth=1
	s_or_b64 exec, exec, s[42:43]
.LBB2_84:                               ;   in Loop: Header=BB2_53 Depth=1
	s_mov_b64 s[42:43], exec
	buffer_load_dword v24, off, s[0:3], s33 offset:76 ; 4-byte Folded Reload
	buffer_load_dword v25, off, s[0:3], s33 offset:80 ; 4-byte Folded Reload
	s_and_b64 s[22:23], s[42:43], s[22:23]
	s_mov_b64 exec, s[22:23]
	s_cbranch_execz .LBB2_613
; %bb.85:                               ;   in Loop: Header=BB2_53 Depth=1
	s_waitcnt vmcnt(0)
	v_cmp_lt_i64_e32 vcc, 0, v[44:45]
	s_and_saveexec_b64 s[44:45], vcc
	s_cbranch_execz .LBB2_612
; %bb.86:                               ;   in Loop: Header=BB2_53 Depth=1
	s_cmp_gt_u32 s26, 1
	v_mov_b32_e32 v6, 0
	s_mov_b64 s[46:47], 0
	v_mov_b32_e32 v7, 0
	s_cselect_b64 s[56:57], -1, 0
	s_branch .LBB2_89
.LBB2_87:                               ;   in Loop: Header=BB2_89 Depth=2
	s_or_b64 exec, exec, s[60:61]
.LBB2_88:                               ;   in Loop: Header=BB2_89 Depth=2
	s_or_b64 exec, exec, s[58:59]
	buffer_load_dword v24, off, s[0:3], s33 offset:76 ; 4-byte Folded Reload
	buffer_load_dword v25, off, s[0:3], s33 offset:80 ; 4-byte Folded Reload
	s_waitcnt vmcnt(0)
	v_add_co_u32_e32 v6, vcc, v6, v24
	v_addc_co_u32_e32 v7, vcc, 0, v7, vcc
	v_cmp_ge_i64_e32 vcc, v[6:7], v[44:45]
	s_or_b64 s[46:47], vcc, s[46:47]
	s_andn2_b64 exec, exec, s[46:47]
	s_cbranch_execz .LBB2_611
.LBB2_89:                               ;   Parent Loop BB2_53 Depth=1
                                        ; =>  This Loop Header: Depth=2
                                        ;       Child Loop BB2_93 Depth 3
                                        ;         Child Loop BB2_101 Depth 4
                                        ;         Child Loop BB2_125 Depth 4
	;; [unrolled: 1-line block ×8, first 2 shown]
                                        ;       Child Loop BB2_213 Depth 3
                                        ;         Child Loop BB2_219 Depth 4
                                        ;         Child Loop BB2_243 Depth 4
                                        ;       Child Loop BB2_265 Depth 3
                                        ;         Child Loop BB2_268 Depth 4
                                        ;           Child Loop BB2_276 Depth 5
                                        ;           Child Loop BB2_304 Depth 5
                                        ;           Child Loop BB2_323 Depth 5
                                        ;           Child Loop BB2_345 Depth 5
                                        ;           Child Loop BB2_350 Depth 5
                                        ;           Child Loop BB2_358 Depth 5
                                        ;           Child Loop BB2_363 Depth 5
                                        ;           Child Loop BB2_372 Depth 5
                                        ;         Child Loop BB2_393 Depth 4
                                        ;           Child Loop BB2_399 Depth 5
                                        ;           Child Loop BB2_427 Depth 5
                                        ;       Child Loop BB2_447 Depth 3
                                        ;         Child Loop BB2_455 Depth 4
                                        ;         Child Loop BB2_479 Depth 4
	;; [unrolled: 1-line block ×8, first 2 shown]
                                        ;       Child Loop BB2_566 Depth 3
                                        ;         Child Loop BB2_572 Depth 4
                                        ;         Child Loop BB2_596 Depth 4
	v_sub_co_u32_e32 v8, vcc, v44, v6
	v_subb_co_u32_e32 v9, vcc, v45, v7, vcc
	v_cmp_lt_i64_e32 vcc, v[24:25], v[8:9]
	v_cndmask_b32_e32 v8, v8, v24, vcc
	v_cndmask_b32_e64 v9, v9, 0, vcc
	v_add_u32_e32 v24, 31, v8
	v_lshrrev_b32_e32 v24, 1, v24
	v_cmp_ne_u64_e32 vcc, 0, v[8:9]
	v_and_b32_e32 v24, 0x3ffffff0, v24
	v_max_i32_e32 v54, s51, v24
	s_and_b64 s[58:59], s[40:41], vcc
	v_mov_b32_e32 v24, 0
	v_mov_b32_e32 v9, 0
	s_and_saveexec_b64 s[60:61], s[58:59]
	s_cbranch_execz .LBB2_209
; %bb.90:                               ;   in Loop: Header=BB2_89 Depth=2
	s_mov_b32 s55, 1
	s_mov_b64 s[72:73], -1
	v_mov_b32_e32 v9, 0
	s_mov_b64 s[62:63], 0
	s_branch .LBB2_93
.LBB2_91:                               ;   in Loop: Header=BB2_93 Depth=3
	s_or_b64 exec, exec, s[74:75]
	v_add_co_u32_e32 v50, vcc, 2, v50
	v_addc_co_u32_e32 v51, vcc, 0, v51, vcc
	flat_store_dwordx2 v[16:17], v[50:51]
.LBB2_92:                               ;   in Loop: Header=BB2_93 Depth=3
	s_or_b64 exec, exec, s[22:23]
	v_add_u32_e32 v9, v54, v9
	v_cmp_ge_i32_e32 vcc, v9, v8
	s_xor_b64 s[22:23], s[72:73], -1
	s_or_b64 s[22:23], s[22:23], vcc
	s_and_b64 s[22:23], exec, s[22:23]
	s_or_b64 s[62:63], s[22:23], s[62:63]
	s_mov_b64 s[72:73], 0
	v_mov_b32_e32 v24, s55
	s_mov_b32 s55, 2
	s_andn2_b64 exec, exec, s[62:63]
	s_cbranch_execz .LBB2_259
.LBB2_93:                               ;   Parent Loop BB2_53 Depth=1
                                        ;     Parent Loop BB2_89 Depth=2
                                        ; =>    This Loop Header: Depth=3
                                        ;         Child Loop BB2_101 Depth 4
                                        ;         Child Loop BB2_125 Depth 4
	;; [unrolled: 1-line block ×8, first 2 shown]
	s_and_saveexec_b64 s[22:23], s[4:5]
	s_cbranch_execz .LBB2_95
; %bb.94:                               ;   in Loop: Header=BB2_93 Depth=3
	s_trap 2
	buffer_load_dword v13, off, s[0:3], s33 offset:60 ; 4-byte Folded Reload
	ds_read_b64 v[24:25], v0
	v_ashrrev_i32_e32 v27, 31, v9
	v_mov_b32_e32 v33, v32
	ds_write_b64 v0, v[32:33]
	s_waitcnt lgkmcnt(0)
	v_add_co_u32_e32 v24, vcc, v24, v52
	s_waitcnt vmcnt(0)
	v_addc_co_u32_e32 v25, vcc, v25, v13, vcc
	v_add_co_u32_e32 v24, vcc, v24, v6
	v_addc_co_u32_e32 v25, vcc, v25, v7, vcc
	v_add_co_u32_e32 v24, vcc, v24, v9
	v_addc_co_u32_e32 v25, vcc, v25, v27, vcc
	ds_write_b64 v0, v[24:25]
.LBB2_95:                               ;   in Loop: Header=BB2_93 Depth=3
	s_or_b64 exec, exec, s[22:23]
	v_sub_u32_e32 v24, v8, v9
	v_min_i32_e32 v54, v54, v24
	v_and_b32_e32 v24, 8, v48
	v_cmp_ne_u32_e32 vcc, 0, v24
	s_and_saveexec_b64 s[74:75], vcc
	s_cbranch_execz .LBB2_117
; %bb.96:                               ;   in Loop: Header=BB2_93 Depth=3
	s_waitcnt vmcnt(0)
	v_add_co_u32_e32 v24, vcc, 8, v22
	v_addc_co_u32_e32 v25, vcc, 0, v23, vcc
	v_add_co_u32_e32 v40, vcc, 2, v50
	v_addc_co_u32_e32 v41, vcc, 0, v51, vcc
	v_cmp_lt_u64_e32 vcc, v[24:25], v[40:41]
	s_and_saveexec_b64 s[76:77], vcc
	s_cbranch_execz .LBB2_108
; %bb.97:                               ;   in Loop: Header=BB2_93 Depth=3
	v_and_b32_e32 v22, 64, v48
	s_mov_b32 s64, 0
	v_cmp_eq_u32_e32 vcc, 0, v22
	s_mov_b64 s[78:79], 0
                                        ; implicit-def: $sgpr88_sgpr89
                                        ; implicit-def: $sgpr90_sgpr91
                                        ; implicit-def: $sgpr92_sgpr93
	s_branch .LBB2_101
.LBB2_98:                               ;   in Loop: Header=BB2_101 Depth=4
	s_waitcnt vmcnt(0) lgkmcnt(0)
	v_add_co_u32_e64 v27, s[22:23], 8, v22
	v_addc_co_u32_e64 v28, s[22:23], 0, v23, s[22:23]
	v_cmp_ge_u64_e64 s[22:23], v[27:28], v[40:41]
	s_or_b64 s[34:35], s[34:35], exec
	s_orn2_b64 s[30:31], s[22:23], exec
.LBB2_99:                               ;   in Loop: Header=BB2_101 Depth=4
	s_or_b64 exec, exec, s[38:39]
	s_andn2_b64 s[22:23], s[92:93], exec
	s_and_b64 s[92:93], s[34:35], exec
	s_or_b64 s[92:93], s[22:23], s[92:93]
	s_andn2_b64 s[22:23], s[90:91], exec
	s_and_b64 s[90:91], s[30:31], exec
	s_or_b64 s[90:91], s[22:23], s[90:91]
.LBB2_100:                              ;   in Loop: Header=BB2_101 Depth=4
	s_or_b64 exec, exec, s[94:95]
	s_and_b64 s[22:23], exec, s[90:91]
	s_or_b64 s[78:79], s[22:23], s[78:79]
	s_andn2_b64 s[22:23], s[88:89], exec
	s_and_b64 s[88:89], s[92:93], exec
	s_or_b64 s[88:89], s[22:23], s[88:89]
	s_andn2_b64 exec, exec, s[78:79]
	s_cbranch_execz .LBB2_105
.LBB2_101:                              ;   Parent Loop BB2_53 Depth=1
                                        ;     Parent Loop BB2_89 Depth=2
                                        ;       Parent Loop BB2_93 Depth=3
                                        ; =>      This Inner Loop Header: Depth=4
	s_sleep 1
	s_waitcnt vmcnt(0) lgkmcnt(0)
	flat_load_dwordx2 v[22:23], v[16:17] glc
	s_or_b64 s[92:93], s[92:93], exec
	s_or_b64 s[90:91], s[90:91], exec
                                        ; implicit-def: $vgpr25
	s_and_saveexec_b64 s[94:95], vcc
	s_cbranch_execz .LBB2_100
; %bb.102:                              ;   in Loop: Header=BB2_101 Depth=4
	s_cmpk_lt_i32 s64, 0x270f
	s_cselect_b64 s[36:37], -1, 0
	s_cmpk_gt_i32 s64, 0x270e
	s_mov_b64 s[30:31], -1
	s_cbranch_scc0 .LBB2_104
; %bb.103:                              ;   in Loop: Header=BB2_101 Depth=4
	s_trap 2
	ds_read_b64 v[24:25], v0
	s_andn2_b64 s[36:37], s[36:37], exec
	s_mov_b32 s64, 0
	s_mov_b64 s[34:35], 0
	s_waitcnt vmcnt(0) lgkmcnt(0)
	flat_load_dword v25, v[24:25] glc
	s_waitcnt vmcnt(0) lgkmcnt(0)
	buffer_wbinvl1_vol
	v_cmp_eq_u32_e64 s[22:23], 0, v25
	s_and_b64 s[22:23], s[22:23], exec
	s_or_b64 s[36:37], s[36:37], s[22:23]
	s_and_saveexec_b64 s[38:39], s[36:37]
	s_cbranch_execz .LBB2_99
	s_branch .LBB2_98
.LBB2_104:                              ;   in Loop: Header=BB2_101 Depth=4
	s_add_i32 s64, s64, 1
	s_mov_b64 s[34:35], -1
                                        ; implicit-def: $vgpr25
	s_and_saveexec_b64 s[38:39], s[36:37]
	s_cbranch_execz .LBB2_99
	s_branch .LBB2_98
.LBB2_105:                              ;   in Loop: Header=BB2_93 Depth=3
	s_or_b64 exec, exec, s[78:79]
	s_xor_b64 s[22:23], s[88:89], -1
	s_and_saveexec_b64 s[78:79], s[22:23]
	s_xor_b64 s[22:23], exec, s[78:79]
	s_cbranch_execz .LBB2_107
; %bb.106:                              ;   in Loop: Header=BB2_93 Depth=3
	v_or_b32_e32 v48, 64, v48
	s_waitcnt lgkmcnt(0)
	ds_write_b32 v0, v25
	s_trap 2
.LBB2_107:                              ;   in Loop: Header=BB2_93 Depth=3
	s_or_b64 exec, exec, s[22:23]
.LBB2_108:                              ;   in Loop: Header=BB2_93 Depth=3
	s_or_b64 exec, exec, s[76:77]
	v_and_b32_e32 v24, 0x100, v48
	v_cmp_ne_u32_e32 vcc, 0, v24
	v_and_b32_e32 v24, 7, v50
	s_mov_b64 s[22:23], -1
	;;#ASMSTART
	s_wakeup
	;;#ASMEND
                                        ; implicit-def: $vgpr50_vgpr51
	s_and_saveexec_b64 s[76:77], vcc
	s_cbranch_execz .LBB2_112
; %bb.109:                              ;   in Loop: Header=BB2_93 Depth=3
	v_mad_u64_u32 v[42:43], s[22:23], v24, 24, v[4:5]
	v_ashrrev_i32_e32 v55, 31, v54
                                        ; implicit-def: $vgpr50_vgpr51
	flat_load_dword v25, v[42:43]
	s_nop 0
	flat_store_dwordx2 v[42:43], v[54:55] offset:8
	s_waitcnt vmcnt(0) lgkmcnt(0)
	v_cmp_ne_u32_e32 vcc, 1, v25
	v_cmp_eq_u32_e64 s[22:23], 1, v25
	s_and_saveexec_b64 s[78:79], s[22:23]
	s_cbranch_execz .LBB2_111
; %bb.110:                              ;   in Loop: Header=BB2_93 Depth=3
	flat_load_dword v50, v[42:43] offset:4 glc
	s_waitcnt vmcnt(0) lgkmcnt(0)
	v_ashrrev_i32_e32 v51, 31, v50
.LBB2_111:                              ;   in Loop: Header=BB2_93 Depth=3
	s_or_b64 exec, exec, s[78:79]
	s_orn2_b64 s[22:23], vcc, exec
.LBB2_112:                              ;   in Loop: Header=BB2_93 Depth=3
	s_or_b64 exec, exec, s[76:77]
	s_and_saveexec_b64 s[76:77], s[22:23]
; %bb.113:                              ;   in Loop: Header=BB2_93 Depth=3
	v_mad_i64_i32 v[50:51], s[22:23], v24, v49, 0
; %bb.114:                              ;   in Loop: Header=BB2_93 Depth=3
	s_or_b64 exec, exec, s[76:77]
	v_add_co_u32_e32 v24, vcc, v18, v50
	v_addc_co_u32_e32 v25, vcc, v19, v51, vcc
	ds_write_b64 v0, v[24:25] offset:784
	v_and_b32_e32 v24, 0x2000, v48
	v_cmp_ne_u32_e32 vcc, 0, v24
	s_and_saveexec_b64 s[22:23], vcc
	s_cbranch_execz .LBB2_116
; %bb.115:                              ;   in Loop: Header=BB2_93 Depth=3
	ds_read_b64 v[24:25], v0 offset:872
	s_waitcnt lgkmcnt(0)
	v_add_co_u32_e32 v24, vcc, 1, v24
	v_addc_co_u32_e32 v25, vcc, 0, v25, vcc
	ds_write_b64 v0, v[24:25] offset:872
.LBB2_116:                              ;   in Loop: Header=BB2_93 Depth=3
	s_or_b64 exec, exec, s[22:23]
	v_mov_b32_e32 v51, v41
	v_mov_b32_e32 v50, v40
.LBB2_117:                              ;   in Loop: Header=BB2_93 Depth=3
	s_or_b64 exec, exec, s[74:75]
	s_and_saveexec_b64 s[22:23], s[6:7]
	s_cbranch_execz .LBB2_136
; %bb.118:                              ;   in Loop: Header=BB2_93 Depth=3
	s_and_saveexec_b64 s[74:75], s[28:29]
	s_xor_b64 s[74:75], exec, s[74:75]
	s_cbranch_execz .LBB2_133
; %bb.119:                              ;   in Loop: Header=BB2_93 Depth=3
	s_and_saveexec_b64 s[76:77], s[12:13]
	s_cbranch_execz .LBB2_132
; %bb.120:                              ;   in Loop: Header=BB2_93 Depth=3
	s_mov_b64 s[88:89], exec
	v_mbcnt_lo_u32_b32 v24, s88, 0
	v_mbcnt_hi_u32_b32 v24, s89, v24
	v_cmp_eq_u32_e32 vcc, 0, v24
	s_waitcnt vmcnt(0) lgkmcnt(0)
	buffer_wbinvl1_vol
	s_and_saveexec_b64 s[78:79], vcc
	s_cbranch_execz .LBB2_122
; %bb.121:                              ;   in Loop: Header=BB2_93 Depth=3
	s_bcnt1_i32_b64 s88, s[88:89]
	v_mov_b32_e32 v24, s88
	v_mov_b32_e32 v25, v32
	ds_add_u64 v0, v[24:25]
	s_trap 2
.LBB2_122:                              ;   in Loop: Header=BB2_93 Depth=3
	s_or_b64 exec, exec, s[78:79]
	s_trap 2
	ds_read_b64 v[24:25], v0
	s_waitcnt lgkmcnt(0)
	v_add_co_u32_e32 v10, vcc, v10, v31
	v_addc_co_u32_e32 v11, vcc, 0, v11, vcc
	v_cmp_lt_u64_e32 vcc, v[24:25], v[10:11]
	s_and_saveexec_b64 s[78:79], vcc
	s_cbranch_execz .LBB2_131
; %bb.123:                              ;   in Loop: Header=BB2_93 Depth=3
	s_mov_b32 s34, 0
	s_mov_b64 s[88:89], 0
                                        ; implicit-def: $sgpr90_sgpr91
                                        ; implicit-def: $sgpr92_sgpr93
	s_branch .LBB2_125
.LBB2_124:                              ;   in Loop: Header=BB2_125 Depth=4
	s_or_b64 exec, exec, s[30:31]
	s_and_b64 s[94:95], exec, vcc
	s_or_b64 s[88:89], s[94:95], s[88:89]
	s_andn2_b64 s[90:91], s[90:91], exec
	s_and_b64 s[94:95], s[92:93], exec
	s_or_b64 s[90:91], s[90:91], s[94:95]
	s_andn2_b64 exec, exec, s[88:89]
	s_cbranch_execz .LBB2_129
.LBB2_125:                              ;   Parent Loop BB2_53 Depth=1
                                        ;     Parent Loop BB2_89 Depth=2
                                        ;       Parent Loop BB2_93 Depth=3
                                        ; =>      This Inner Loop Header: Depth=4
	s_add_i32 s34, s34, 1
	s_cmpk_lg_i32 s34, 0x2710
	s_cselect_b64 s[94:95], -1, 0
	s_and_b64 vcc, exec, s[94:95]
	s_cbranch_vccz .LBB2_127
; %bb.126:                              ;   in Loop: Header=BB2_125 Depth=4
	s_mov_b64 vcc, -1
	s_or_b64 s[92:93], s[92:93], exec
	s_and_saveexec_b64 s[30:31], s[94:95]
	s_cbranch_execz .LBB2_124
	s_branch .LBB2_128
.LBB2_127:                              ;   in Loop: Header=BB2_125 Depth=4
	s_trap 2
	ds_read_b64 v[24:25], v0
	s_andn2_b64 s[94:95], s[94:95], exec
	s_mov_b32 s34, 0
	s_waitcnt lgkmcnt(0)
	flat_load_dword v24, v[24:25] glc
	s_waitcnt vmcnt(0) lgkmcnt(0)
	buffer_wbinvl1_vol
	v_cmp_eq_u32_e32 vcc, 0, v24
	s_and_b64 vcc, vcc, exec
	s_or_b64 s[94:95], s[94:95], vcc
	s_mov_b64 vcc, -1
	s_or_b64 s[92:93], s[92:93], exec
	s_and_saveexec_b64 s[30:31], s[94:95]
	s_cbranch_execz .LBB2_124
.LBB2_128:                              ;   in Loop: Header=BB2_125 Depth=4
	s_sleep 1
	s_trap 2
	ds_read_b64 v[24:25], v0
	s_waitcnt lgkmcnt(0)
	s_andn2_b64 s[92:93], s[92:93], exec
	v_cmp_ge_u64_e32 vcc, v[24:25], v[10:11]
	s_orn2_b64 vcc, vcc, exec
	s_branch .LBB2_124
.LBB2_129:                              ;   in Loop: Header=BB2_93 Depth=3
	s_or_b64 exec, exec, s[88:89]
	s_and_saveexec_b64 s[88:89], s[90:91]
	s_xor_b64 s[88:89], exec, s[88:89]
	s_cbranch_execz .LBB2_131
; %bb.130:                              ;   in Loop: Header=BB2_93 Depth=3
	ds_write_b32 v0, v1
	s_trap 2
.LBB2_131:                              ;   in Loop: Header=BB2_93 Depth=3
	s_or_b64 exec, exec, s[78:79]
	;;#ASMSTART
	s_wakeup
	;;#ASMEND
.LBB2_132:                              ;   in Loop: Header=BB2_93 Depth=3
	s_or_b64 exec, exec, s[76:77]
.LBB2_133:                              ;   in Loop: Header=BB2_93 Depth=3
	s_andn2_saveexec_b64 s[74:75], s[74:75]
	s_cbranch_execz .LBB2_135
; %bb.134:                              ;   in Loop: Header=BB2_93 Depth=3
	s_waitcnt vmcnt(0) lgkmcnt(0)
	buffer_wbinvl1_vol
	s_barrier
.LBB2_135:                              ;   in Loop: Header=BB2_93 Depth=3
	s_or_b64 exec, exec, s[74:75]
.LBB2_136:                              ;   in Loop: Header=BB2_93 Depth=3
	s_or_b64 exec, exec, s[22:23]
	s_trap 2
	ds_read_b32 v25, v0
	v_and_b32_e32 v24, 0x4000, v48
	v_cmp_ne_u32_e32 vcc, 0, v24
	s_xor_b64 s[22:23], s[16:17], -1
	s_and_b64 s[74:75], s[22:23], vcc
	s_and_saveexec_b64 s[22:23], s[74:75]
	s_cbranch_execz .LBB2_155
; %bb.137:                              ;   in Loop: Header=BB2_93 Depth=3
	s_and_saveexec_b64 s[74:75], s[28:29]
	s_xor_b64 s[74:75], exec, s[74:75]
	s_cbranch_execz .LBB2_152
; %bb.138:                              ;   in Loop: Header=BB2_93 Depth=3
	s_and_saveexec_b64 s[76:77], s[12:13]
	s_cbranch_execz .LBB2_151
; %bb.139:                              ;   in Loop: Header=BB2_93 Depth=3
	s_mov_b64 s[88:89], exec
	v_mbcnt_lo_u32_b32 v24, s88, 0
	v_mbcnt_hi_u32_b32 v24, s89, v24
	v_cmp_eq_u32_e32 vcc, 0, v24
	s_waitcnt vmcnt(0) lgkmcnt(0)
	buffer_wbinvl1_vol
	s_and_saveexec_b64 s[78:79], vcc
	s_cbranch_execz .LBB2_141
; %bb.140:                              ;   in Loop: Header=BB2_93 Depth=3
	s_bcnt1_i32_b64 s88, s[88:89]
	v_mov_b32_e32 v27, s88
	v_mov_b32_e32 v28, v32
	ds_add_u64 v0, v[27:28]
	s_trap 2
.LBB2_141:                              ;   in Loop: Header=BB2_93 Depth=3
	s_or_b64 exec, exec, s[78:79]
	s_trap 2
	ds_read_b64 v[27:28], v0
	s_waitcnt lgkmcnt(0)
	v_add_co_u32_e32 v10, vcc, v10, v31
	v_addc_co_u32_e32 v11, vcc, 0, v11, vcc
	v_cmp_lt_u64_e32 vcc, v[27:28], v[10:11]
	s_and_saveexec_b64 s[78:79], vcc
	s_cbranch_execz .LBB2_150
; %bb.142:                              ;   in Loop: Header=BB2_93 Depth=3
	s_mov_b32 s34, 0
	s_mov_b64 s[88:89], 0
                                        ; implicit-def: $sgpr90_sgpr91
                                        ; implicit-def: $sgpr92_sgpr93
	s_branch .LBB2_144
.LBB2_143:                              ;   in Loop: Header=BB2_144 Depth=4
	s_or_b64 exec, exec, s[30:31]
	s_and_b64 s[94:95], exec, vcc
	s_or_b64 s[88:89], s[94:95], s[88:89]
	s_andn2_b64 s[90:91], s[90:91], exec
	s_and_b64 s[94:95], s[92:93], exec
	s_or_b64 s[90:91], s[90:91], s[94:95]
	s_andn2_b64 exec, exec, s[88:89]
	s_cbranch_execz .LBB2_148
.LBB2_144:                              ;   Parent Loop BB2_53 Depth=1
                                        ;     Parent Loop BB2_89 Depth=2
                                        ;       Parent Loop BB2_93 Depth=3
                                        ; =>      This Inner Loop Header: Depth=4
	s_add_i32 s34, s34, 1
	s_cmpk_lg_i32 s34, 0x2710
	s_cselect_b64 s[94:95], -1, 0
	s_and_b64 vcc, exec, s[94:95]
	s_cbranch_vccz .LBB2_146
; %bb.145:                              ;   in Loop: Header=BB2_144 Depth=4
	s_mov_b64 vcc, -1
	s_or_b64 s[92:93], s[92:93], exec
	s_and_saveexec_b64 s[30:31], s[94:95]
	s_cbranch_execz .LBB2_143
	s_branch .LBB2_147
.LBB2_146:                              ;   in Loop: Header=BB2_144 Depth=4
	s_trap 2
	ds_read_b64 v[27:28], v0
	s_andn2_b64 s[94:95], s[94:95], exec
	s_mov_b32 s34, 0
	s_waitcnt lgkmcnt(0)
	flat_load_dword v24, v[27:28] glc
	s_waitcnt vmcnt(0) lgkmcnt(0)
	buffer_wbinvl1_vol
	v_cmp_eq_u32_e32 vcc, 0, v24
	s_and_b64 vcc, vcc, exec
	s_or_b64 s[94:95], s[94:95], vcc
	s_mov_b64 vcc, -1
	s_or_b64 s[92:93], s[92:93], exec
	s_and_saveexec_b64 s[30:31], s[94:95]
	s_cbranch_execz .LBB2_143
.LBB2_147:                              ;   in Loop: Header=BB2_144 Depth=4
	s_sleep 1
	s_trap 2
	ds_read_b64 v[27:28], v0
	s_waitcnt lgkmcnt(0)
	s_andn2_b64 s[92:93], s[92:93], exec
	v_cmp_ge_u64_e32 vcc, v[27:28], v[10:11]
	s_orn2_b64 vcc, vcc, exec
	s_branch .LBB2_143
.LBB2_148:                              ;   in Loop: Header=BB2_93 Depth=3
	s_or_b64 exec, exec, s[88:89]
	s_and_saveexec_b64 s[88:89], s[90:91]
	s_xor_b64 s[88:89], exec, s[88:89]
	s_cbranch_execz .LBB2_150
; %bb.149:                              ;   in Loop: Header=BB2_93 Depth=3
	ds_write_b32 v0, v1
	s_trap 2
.LBB2_150:                              ;   in Loop: Header=BB2_93 Depth=3
	s_or_b64 exec, exec, s[78:79]
	;;#ASMSTART
	s_wakeup
	;;#ASMEND
.LBB2_151:                              ;   in Loop: Header=BB2_93 Depth=3
	s_or_b64 exec, exec, s[76:77]
.LBB2_152:                              ;   in Loop: Header=BB2_93 Depth=3
	s_andn2_saveexec_b64 s[74:75], s[74:75]
	s_cbranch_execz .LBB2_154
; %bb.153:                              ;   in Loop: Header=BB2_93 Depth=3
	s_waitcnt vmcnt(0) lgkmcnt(0)
	buffer_wbinvl1_vol
	s_barrier
.LBB2_154:                              ;   in Loop: Header=BB2_93 Depth=3
	s_or_b64 exec, exec, s[74:75]
.LBB2_155:                              ;   in Loop: Header=BB2_93 Depth=3
	s_or_b64 exec, exec, s[22:23]
	s_trap 2
	ds_read_b64 v[40:41], v0
	s_waitcnt lgkmcnt(0)
	v_cmp_eq_u64_e32 vcc, 0, v[40:41]
	s_cbranch_vccnz .LBB2_163
; %bb.156:                              ;   in Loop: Header=BB2_93 Depth=3
	s_trap 2
	ds_read_b64 v[42:43], v0
	s_waitcnt lgkmcnt(0)
	v_cmp_eq_u64_e32 vcc, 0, v[42:43]
	s_cbranch_vccnz .LBB2_163
; %bb.157:                              ;   in Loop: Header=BB2_93 Depth=3
	s_mov_b64 s[22:23], -1
	s_and_saveexec_b64 s[74:75], s[10:11]
	s_cbranch_execz .LBB2_159
; %bb.158:                              ;   in Loop: Header=BB2_93 Depth=3
	ds_read_b32 v24, v0 offset:720
	s_waitcnt lgkmcnt(0)
	v_and_b32_e32 v24, 15, v24
	v_cmp_eq_u32_e32 vcc, 0, v24
	s_orn2_b64 s[22:23], vcc, exec
.LBB2_159:                              ;   in Loop: Header=BB2_93 Depth=3
	s_or_b64 exec, exec, s[74:75]
	s_and_saveexec_b64 s[74:75], s[14:15]
	s_cbranch_execz .LBB2_161
; %bb.160:                              ;   in Loop: Header=BB2_93 Depth=3
	ds_read_b32 v24, v0 offset:784
	s_waitcnt lgkmcnt(0)
	v_and_b32_e32 v24, 15, v24
	v_cmp_eq_u32_e32 vcc, 0, v24
	s_and_b64 s[76:77], s[22:23], vcc
	s_andn2_b64 s[22:23], s[22:23], exec
	s_and_b64 s[76:77], s[76:77], exec
	s_or_b64 s[22:23], s[22:23], s[76:77]
.LBB2_161:                              ;   in Loop: Header=BB2_93 Depth=3
	s_or_b64 exec, exec, s[74:75]
	v_cmp_eq_u32_e32 vcc, 0, v25
	s_xor_b64 s[22:23], s[22:23], -1
	v_cndmask_b32_e32 v25, 0, v54, vcc
	v_cndmask_b32_e64 v24, 0, 1, s[22:23]
	s_mov_b64 s[76:77], -1
	v_cmp_ne_u32_e32 vcc, 0, v24
	v_mov_b32_e32 v33, 0
	v_mov_b32_e32 v55, v25
	v_mov_b32_e32 v44, v0
	v_mov_b32_e32 v46, v36
	s_cbranch_vccz .LBB2_164
; %bb.162:                              ;   in Loop: Header=BB2_93 Depth=3
	s_and_saveexec_b64 s[22:23], s[76:77]
	s_cbranch_execnz .LBB2_177
	s_branch .LBB2_185
.LBB2_163:                              ;   in Loop: Header=BB2_93 Depth=3
	s_mov_b64 s[22:23], 0
	s_and_saveexec_b64 s[74:75], s[6:7]
	s_cbranch_execnz .LBB2_186
	s_branch .LBB2_204
.LBB2_164:                              ;   in Loop: Header=BB2_93 Depth=3
	v_ashrrev_i32_e32 v24, 31, v25
	v_lshrrev_b32_e32 v24, 21, v24
	v_add_u32_e32 v24, v25, v24
	v_ashrrev_i32_e32 v33, 11, v24
	v_sub_u32_e32 v24, v33, v36
	v_cmp_lt_i32_e32 vcc, 0, v24
	s_and_saveexec_b64 s[22:23], vcc
	s_cbranch_execz .LBB2_168
; %bb.165:                              ;   in Loop: Header=BB2_93 Depth=3
	v_mov_b32_e32 v45, v39
	s_mov_b64 s[74:75], 0
	v_mov_b32_e32 v44, v38
.LBB2_166:                              ;   Parent Loop BB2_53 Depth=1
                                        ;     Parent Loop BB2_89 Depth=2
                                        ;       Parent Loop BB2_93 Depth=3
                                        ; =>      This Inner Loop Header: Depth=4
	v_add_co_u32_e32 v27, vcc, v40, v44
	v_addc_co_u32_e32 v28, vcc, v41, v45, vcc
	global_load_dwordx4 v[55:58], v[27:28], off glc slc
	global_load_dwordx4 v[59:62], v[27:28], off offset:1024 glc slc
	v_add_co_u32_e32 v27, vcc, v42, v44
	v_addc_co_u32_e32 v28, vcc, v43, v45, vcc
	v_add_co_u32_e32 v44, vcc, v44, v14
	v_sub_u32_e32 v24, v24, v31
	v_addc_co_u32_e32 v45, vcc, 0, v45, vcc
	v_cmp_gt_i32_e32 vcc, 1, v24
	s_or_b64 s[74:75], vcc, s[74:75]
	s_waitcnt vmcnt(0)
	global_store_dwordx4 v[27:28], v[55:58], off glc slc
	global_store_dwordx4 v[27:28], v[59:62], off offset:1024 glc slc
	s_andn2_b64 exec, exec, s[74:75]
	s_cbranch_execnz .LBB2_166
; %bb.167:                              ;   in Loop: Header=BB2_93 Depth=3
	s_or_b64 exec, exec, s[74:75]
.LBB2_168:                              ;   in Loop: Header=BB2_93 Depth=3
	s_or_b64 exec, exec, s[22:23]
	v_lshlrev_b32_e32 v45, 11, v33
	v_cmp_ne_u32_e32 vcc, v25, v45
	s_mov_b64 s[76:77], 0
	v_mov_b32_e32 v33, 0
                                        ; implicit-def: $vgpr55
                                        ; implicit-def: $vgpr44
                                        ; implicit-def: $vgpr46
	s_and_saveexec_b64 s[74:75], vcc
	s_cbranch_execz .LBB2_176
; %bb.169:                              ;   in Loop: Header=BB2_93 Depth=3
	v_lshlrev_b32_e32 v24, 6, v24
	v_sub_u32_e32 v24, v12, v24
	v_ashrrev_i32_e32 v28, 31, v24
	v_lshrrev_b32_e32 v28, 26, v28
	v_add_u32_e32 v28, v24, v28
	v_sub_u32_e32 v27, v25, v45
	v_ashrrev_i32_e32 v29, 6, v28
	v_and_b32_e32 v28, 0xffffffc0, v28
	v_sub_u32_e32 v47, v24, v28
	v_ashrrev_i32_e32 v28, 31, v27
	v_lshrrev_b32_e32 v28, 22, v28
	v_add_u32_e32 v28, v27, v28
	v_and_b32_e32 v56, 0xfffffc00, v28
	v_lshlrev_b32_e32 v24, 4, v47
	v_sub_u32_e32 v58, v27, v56
	v_lshl_add_u32 v33, v29, 10, v24
	v_ashrrev_i32_e32 v30, 10, v28
	v_cmp_lt_i32_e32 vcc, 15, v58
	v_sub_u32_e32 v24, v27, v33
	v_addc_co_u32_e64 v27, s[22:23], 0, v30, vcc
	v_sub_u32_e32 v57, v27, v29
	v_cmp_lt_i32_e64 s[22:23], 15, v24
	s_and_saveexec_b64 s[76:77], s[22:23]
	s_cbranch_execz .LBB2_173
; %bb.170:                              ;   in Loop: Header=BB2_93 Depth=3
	v_add_u32_e32 v33, v33, v45
	v_ashrrev_i32_e32 v55, 31, v33
	s_mov_b64 s[78:79], 0
.LBB2_171:                              ;   Parent Loop BB2_53 Depth=1
                                        ;     Parent Loop BB2_89 Depth=2
                                        ;       Parent Loop BB2_93 Depth=3
                                        ; =>      This Inner Loop Header: Depth=4
	v_add_co_u32_e64 v27, s[22:23], v40, v33
	v_addc_co_u32_e64 v28, s[22:23], v41, v55, s[22:23]
	global_load_dwordx4 v[59:62], v[27:28], off glc slc
	v_add_co_u32_e64 v27, s[22:23], v42, v33
	v_addc_co_u32_e64 v28, s[22:23], v43, v55, s[22:23]
	v_add_co_u32_e64 v33, s[22:23], v33, v15
	v_sub_u32_e32 v24, v24, v15
	v_addc_co_u32_e64 v55, s[22:23], 0, v55, s[22:23]
	v_cmp_gt_i32_e64 s[22:23], 16, v24
	v_sub_u32_e32 v57, v57, v31
	s_or_b64 s[78:79], s[22:23], s[78:79]
	s_waitcnt vmcnt(0)
	global_store_dwordx4 v[27:28], v[59:62], off glc slc
	s_andn2_b64 exec, exec, s[78:79]
	s_cbranch_execnz .LBB2_171
; %bb.172:                              ;   in Loop: Header=BB2_93 Depth=3
	s_or_b64 exec, exec, s[78:79]
.LBB2_173:                              ;   in Loop: Header=BB2_93 Depth=3
	s_or_b64 exec, exec, s[76:77]
	v_and_b32_e32 v24, 15, v25
	v_cndmask_b32_e32 v55, v58, v24, vcc
	v_mov_b32_e32 v33, 0
	v_cmp_ne_u32_e64 s[22:23], 0, v55
	s_mov_b64 s[78:79], 0
                                        ; implicit-def: $vgpr44
                                        ; implicit-def: $vgpr46
	s_and_saveexec_b64 s[76:77], s[22:23]
	s_cbranch_execz .LBB2_175
; %bb.174:                              ;   in Loop: Header=BB2_93 Depth=3
	v_sub_u32_e32 v24, v58, v24
	v_cndmask_b32_e32 v24, 0, v24, vcc
	v_cmp_lt_i32_e32 vcc, 0, v57
	v_add3_u32 v33, v56, v45, v24
	v_cndmask_b32_e32 v24, 0, v31, vcc
	v_sub_u32_e32 v24, v24, v57
	v_lshl_add_u32 v44, v24, 6, v47
	v_ashrrev_i32_e32 v24, 31, v44
	v_lshrrev_b32_e32 v24, 26, v24
	v_add_u32_e32 v24, v44, v24
	v_ashrrev_i32_e32 v46, 6, v24
	s_mov_b64 s[78:79], exec
.LBB2_175:                              ;   in Loop: Header=BB2_93 Depth=3
	s_or_b64 exec, exec, s[76:77]
	s_and_b64 s[76:77], s[78:79], exec
.LBB2_176:                              ;   in Loop: Header=BB2_93 Depth=3
	s_or_b64 exec, exec, s[74:75]
	s_and_saveexec_b64 s[22:23], s[76:77]
	s_cbranch_execz .LBB2_185
.LBB2_177:                              ;   in Loop: Header=BB2_93 Depth=3
	v_ashrrev_i32_e32 v24, 31, v55
	v_lshrrev_b32_e32 v24, 23, v24
	v_add_u32_e32 v24, v55, v24
	v_ashrrev_i32_e32 v56, 9, v24
	v_sub_u32_e32 v45, v56, v46
	v_ashrrev_i32_e32 v24, 31, v44
	v_cmp_lt_i32_e32 vcc, 0, v45
	v_lshrrev_b32_e32 v47, 26, v24
	s_and_saveexec_b64 s[74:75], vcc
	s_cbranch_execz .LBB2_181
; %bb.178:                              ;   in Loop: Header=BB2_93 Depth=3
	v_add_u32_e32 v24, v44, v47
	v_and_b32_e32 v24, 0xffffffc0, v24
	v_sub_u32_e32 v24, v44, v24
	v_lshlrev_b32_e32 v27, 9, v46
	v_add3_u32 v24, v33, v24, v27
	v_ashrrev_i32_e32 v46, 31, v24
	s_mov_b64 s[76:77], 0
.LBB2_179:                              ;   Parent Loop BB2_53 Depth=1
                                        ;     Parent Loop BB2_89 Depth=2
                                        ;       Parent Loop BB2_93 Depth=3
                                        ; =>      This Inner Loop Header: Depth=4
	v_add_co_u32_e32 v27, vcc, v24, v40
	v_addc_co_u32_e32 v28, vcc, v46, v41, vcc
	flat_load_ubyte v29, v[27:28] glc slc
	flat_load_ubyte v30, v[27:28] offset:64 glc slc
	flat_load_ubyte v53, v[27:28] offset:128 glc slc
	;; [unrolled: 1-line block ×7, first 2 shown]
	v_add_co_u32_e32 v27, vcc, v24, v42
	v_addc_co_u32_e32 v28, vcc, v46, v43, vcc
	v_add_co_u32_e32 v40, vcc, v40, v34
	v_addc_co_u32_e32 v41, vcc, 0, v41, vcc
	v_add_co_u32_e32 v42, vcc, v42, v34
	v_sub_u32_e32 v45, v45, v31
	v_addc_co_u32_e32 v43, vcc, 0, v43, vcc
	v_cmp_gt_i32_e32 vcc, 1, v45
	s_or_b64 s[76:77], vcc, s[76:77]
	s_waitcnt vmcnt(0) lgkmcnt(0)
	flat_store_byte v[27:28], v29 glc slc
	flat_store_byte v[27:28], v30 offset:64 glc slc
	flat_store_byte v[27:28], v53 offset:128 glc slc
	;; [unrolled: 1-line block ×7, first 2 shown]
	s_andn2_b64 exec, exec, s[76:77]
	s_cbranch_execnz .LBB2_179
; %bb.180:                              ;   in Loop: Header=BB2_93 Depth=3
	s_or_b64 exec, exec, s[76:77]
.LBB2_181:                              ;   in Loop: Header=BB2_93 Depth=3
	s_or_b64 exec, exec, s[74:75]
	v_lshlrev_b32_e32 v24, 9, v56
	v_cmp_ne_u32_e32 vcc, v55, v24
	s_and_b64 exec, exec, vcc
	s_cbranch_execz .LBB2_185
; %bb.182:                              ;   in Loop: Header=BB2_93 Depth=3
	v_add_u32_e32 v27, v44, v47
	v_and_b32_e32 v27, 0xffffffc0, v27
	v_sub_u32_e32 v27, v44, v27
	v_lshlrev_b32_e32 v28, 6, v45
	v_sub_u32_e32 v27, v27, v28
	v_add_u32_e32 v40, v24, v27
	v_sub_u32_e32 v24, v55, v40
	v_cmp_lt_i32_e32 vcc, 0, v24
	s_and_b64 exec, exec, vcc
	s_cbranch_execz .LBB2_185
; %bb.183:                              ;   in Loop: Header=BB2_93 Depth=3
	v_add_u32_e32 v33, v40, v33
	s_trap 2
	ds_read_b64 v[40:41], v0
	v_ashrrev_i32_e32 v55, 31, v33
	s_mov_b64 s[74:75], 0
.LBB2_184:                              ;   Parent Loop BB2_53 Depth=1
                                        ;     Parent Loop BB2_89 Depth=2
                                        ;       Parent Loop BB2_93 Depth=3
                                        ; =>      This Inner Loop Header: Depth=4
	s_waitcnt lgkmcnt(0)
	v_add_co_u32_e32 v27, vcc, v40, v33
	v_addc_co_u32_e32 v28, vcc, v41, v55, vcc
	flat_load_ubyte v29, v[27:28] glc slc
	v_add_co_u32_e32 v33, vcc, v33, v3
	v_sub_u32_e32 v24, v24, v3
	v_addc_co_u32_e32 v55, vcc, 0, v55, vcc
	v_cmp_gt_i32_e32 vcc, 1, v24
	s_or_b64 s[74:75], vcc, s[74:75]
	s_waitcnt vmcnt(0) lgkmcnt(0)
	flat_store_byte v[27:28], v29 glc slc
	s_andn2_b64 exec, exec, s[74:75]
	s_cbranch_execnz .LBB2_184
.LBB2_185:                              ;   in Loop: Header=BB2_93 Depth=3
	s_or_b64 exec, exec, s[22:23]
	v_cmp_lt_i32_e64 s[22:23], 0, v25
	s_and_saveexec_b64 s[74:75], s[6:7]
	s_cbranch_execz .LBB2_204
.LBB2_186:                              ;   in Loop: Header=BB2_93 Depth=3
	s_and_saveexec_b64 s[76:77], s[28:29]
	s_xor_b64 s[76:77], exec, s[76:77]
	s_cbranch_execz .LBB2_201
; %bb.187:                              ;   in Loop: Header=BB2_93 Depth=3
	s_and_saveexec_b64 s[78:79], s[12:13]
	s_cbranch_execz .LBB2_200
; %bb.188:                              ;   in Loop: Header=BB2_93 Depth=3
	s_mov_b64 s[90:91], exec
	v_mbcnt_lo_u32_b32 v24, s90, 0
	v_mbcnt_hi_u32_b32 v24, s91, v24
	v_cmp_eq_u32_e32 vcc, 0, v24
	s_waitcnt vmcnt(0) lgkmcnt(0)
	buffer_wbinvl1_vol
	s_and_saveexec_b64 s[88:89], vcc
	s_cbranch_execz .LBB2_190
; %bb.189:                              ;   in Loop: Header=BB2_93 Depth=3
	s_bcnt1_i32_b64 s90, s[90:91]
	v_mov_b32_e32 v24, s90
	v_mov_b32_e32 v25, v32
	ds_add_u64 v0, v[24:25]
	s_trap 2
.LBB2_190:                              ;   in Loop: Header=BB2_93 Depth=3
	s_or_b64 exec, exec, s[88:89]
	s_trap 2
	ds_read_b64 v[24:25], v0
	s_waitcnt lgkmcnt(0)
	v_add_co_u32_e32 v10, vcc, v10, v31
	v_addc_co_u32_e32 v11, vcc, 0, v11, vcc
	v_cmp_lt_u64_e32 vcc, v[24:25], v[10:11]
	s_and_saveexec_b64 s[88:89], vcc
	s_cbranch_execz .LBB2_199
; %bb.191:                              ;   in Loop: Header=BB2_93 Depth=3
	s_mov_b32 s36, 0
	s_mov_b64 s[90:91], 0
                                        ; implicit-def: $sgpr92_sgpr93
                                        ; implicit-def: $sgpr94_sgpr95
	s_branch .LBB2_193
.LBB2_192:                              ;   in Loop: Header=BB2_193 Depth=4
	s_or_b64 exec, exec, s[34:35]
	s_and_b64 vcc, exec, vcc
	s_or_b64 s[90:91], vcc, s[90:91]
	s_andn2_b64 s[92:93], s[92:93], exec
	s_and_b64 vcc, s[94:95], exec
	s_or_b64 s[92:93], s[92:93], vcc
	s_andn2_b64 exec, exec, s[90:91]
	s_cbranch_execz .LBB2_197
.LBB2_193:                              ;   Parent Loop BB2_53 Depth=1
                                        ;     Parent Loop BB2_89 Depth=2
                                        ;       Parent Loop BB2_93 Depth=3
                                        ; =>      This Inner Loop Header: Depth=4
	s_add_i32 s36, s36, 1
	s_cmpk_lg_i32 s36, 0x2710
	s_cselect_b64 s[30:31], -1, 0
	s_and_b64 vcc, exec, s[30:31]
	s_cbranch_vccz .LBB2_195
; %bb.194:                              ;   in Loop: Header=BB2_193 Depth=4
	s_mov_b64 vcc, -1
	s_or_b64 s[94:95], s[94:95], exec
	s_and_saveexec_b64 s[34:35], s[30:31]
	s_cbranch_execz .LBB2_192
	s_branch .LBB2_196
.LBB2_195:                              ;   in Loop: Header=BB2_193 Depth=4
	s_trap 2
	ds_read_b64 v[24:25], v0
	s_andn2_b64 s[30:31], s[30:31], exec
	s_mov_b32 s36, 0
	s_waitcnt lgkmcnt(0)
	flat_load_dword v24, v[24:25] glc
	s_waitcnt vmcnt(0) lgkmcnt(0)
	buffer_wbinvl1_vol
	v_cmp_eq_u32_e32 vcc, 0, v24
	s_and_b64 vcc, vcc, exec
	s_or_b64 s[30:31], s[30:31], vcc
	s_mov_b64 vcc, -1
	s_or_b64 s[94:95], s[94:95], exec
	s_and_saveexec_b64 s[34:35], s[30:31]
	s_cbranch_execz .LBB2_192
.LBB2_196:                              ;   in Loop: Header=BB2_193 Depth=4
	s_sleep 1
	s_trap 2
	ds_read_b64 v[24:25], v0
	s_waitcnt lgkmcnt(0)
	s_andn2_b64 s[94:95], s[94:95], exec
	v_cmp_ge_u64_e32 vcc, v[24:25], v[10:11]
	s_orn2_b64 vcc, vcc, exec
	s_branch .LBB2_192
.LBB2_197:                              ;   in Loop: Header=BB2_93 Depth=3
	s_or_b64 exec, exec, s[90:91]
	s_and_saveexec_b64 s[90:91], s[92:93]
	s_xor_b64 s[90:91], exec, s[90:91]
	s_cbranch_execz .LBB2_199
; %bb.198:                              ;   in Loop: Header=BB2_93 Depth=3
	ds_write_b32 v0, v1
	s_trap 2
.LBB2_199:                              ;   in Loop: Header=BB2_93 Depth=3
	s_or_b64 exec, exec, s[88:89]
	;;#ASMSTART
	s_wakeup
	;;#ASMEND
.LBB2_200:                              ;   in Loop: Header=BB2_93 Depth=3
	s_or_b64 exec, exec, s[78:79]
.LBB2_201:                              ;   in Loop: Header=BB2_93 Depth=3
	s_andn2_saveexec_b64 s[76:77], s[76:77]
	s_cbranch_execz .LBB2_203
; %bb.202:                              ;   in Loop: Header=BB2_93 Depth=3
	s_waitcnt vmcnt(0) lgkmcnt(0)
	buffer_wbinvl1_vol
	s_barrier
.LBB2_203:                              ;   in Loop: Header=BB2_93 Depth=3
	s_or_b64 exec, exec, s[76:77]
.LBB2_204:                              ;   in Loop: Header=BB2_93 Depth=3
	s_or_b64 exec, exec, s[74:75]
	v_and_b32_e32 v24, 16, v48
	v_cmp_ne_u32_e32 vcc, 0, v24
	s_and_b64 s[74:75], vcc, s[22:23]
	s_and_saveexec_b64 s[22:23], s[74:75]
	s_cbranch_execz .LBB2_206
; %bb.205:                              ;   in Loop: Header=BB2_93 Depth=3
	s_waitcnt vmcnt(0) lgkmcnt(0)
	buffer_wbinvl1_vol
.LBB2_206:                              ;   in Loop: Header=BB2_93 Depth=3
	s_or_b64 exec, exec, s[22:23]
	v_cmp_ne_u32_e32 vcc, 0, v24
	s_and_saveexec_b64 s[22:23], vcc
	s_cbranch_execz .LBB2_92
; %bb.207:                              ;   in Loop: Header=BB2_93 Depth=3
	s_and_saveexec_b64 s[74:75], s[20:21]
	s_cbranch_execz .LBB2_91
; %bb.208:                              ;   in Loop: Header=BB2_93 Depth=3
	flat_store_dword v[20:21], v1
	s_branch .LBB2_91
.LBB2_209:                              ;   in Loop: Header=BB2_89 Depth=2
	s_or_b64 exec, exec, s[60:61]
	v_cmp_gt_i32_e32 vcc, 2, v24
	s_and_saveexec_b64 s[60:61], vcc
	s_cbranch_execz .LBB2_260
.LBB2_210:                              ;   in Loop: Header=BB2_89 Depth=2
	v_cmp_eq_u32_e64 s[72:73], 0, v24
	s_mov_b64 s[62:63], 0
	s_branch .LBB2_213
.LBB2_211:                              ;   in Loop: Header=BB2_213 Depth=3
	s_or_b64 exec, exec, s[72:73]
	v_add_co_u32_e32 v50, vcc, 2, v50
	v_addc_co_u32_e32 v51, vcc, 0, v51, vcc
	flat_store_dwordx2 v[16:17], v[50:51]
.LBB2_212:                              ;   in Loop: Header=BB2_213 Depth=3
	s_or_b64 exec, exec, s[22:23]
	v_add_u32_e32 v9, v54, v9
	s_mov_b64 s[72:73], 0
	s_andn2_b64 exec, exec, s[62:63]
	s_cbranch_execz .LBB2_261
.LBB2_213:                              ;   Parent Loop BB2_53 Depth=1
                                        ;     Parent Loop BB2_89 Depth=2
                                        ; =>    This Loop Header: Depth=3
                                        ;         Child Loop BB2_219 Depth 4
                                        ;         Child Loop BB2_243 Depth 4
	v_sub_u32_e32 v24, v8, v9
	v_min_i32_e32 v54, v54, v24
	v_and_b32_e32 v24, 8, v48
	v_cmp_ne_u32_e32 vcc, 0, v24
	s_and_saveexec_b64 s[74:75], vcc
	s_cbranch_execz .LBB2_235
; %bb.214:                              ;   in Loop: Header=BB2_213 Depth=3
	s_waitcnt vmcnt(0)
	v_add_co_u32_e32 v24, vcc, 8, v22
	v_addc_co_u32_e32 v25, vcc, 0, v23, vcc
	v_add_co_u32_e32 v40, vcc, 2, v50
	v_addc_co_u32_e32 v41, vcc, 0, v51, vcc
	v_cmp_lt_u64_e32 vcc, v[24:25], v[40:41]
	s_and_saveexec_b64 s[76:77], vcc
	s_cbranch_execz .LBB2_226
; %bb.215:                              ;   in Loop: Header=BB2_213 Depth=3
	v_and_b32_e32 v22, 64, v48
	s_mov_b32 s55, 0
	v_cmp_eq_u32_e32 vcc, 0, v22
	s_mov_b64 s[78:79], 0
                                        ; implicit-def: $sgpr88_sgpr89
                                        ; implicit-def: $sgpr90_sgpr91
                                        ; implicit-def: $sgpr92_sgpr93
	s_branch .LBB2_219
.LBB2_216:                              ;   in Loop: Header=BB2_219 Depth=4
	s_waitcnt vmcnt(0) lgkmcnt(0)
	v_add_co_u32_e64 v27, s[22:23], 8, v22
	v_addc_co_u32_e64 v28, s[22:23], 0, v23, s[22:23]
	v_cmp_ge_u64_e64 s[22:23], v[27:28], v[40:41]
	s_or_b64 s[34:35], s[34:35], exec
	s_orn2_b64 s[30:31], s[22:23], exec
.LBB2_217:                              ;   in Loop: Header=BB2_219 Depth=4
	s_or_b64 exec, exec, s[38:39]
	s_andn2_b64 s[22:23], s[92:93], exec
	s_and_b64 s[92:93], s[34:35], exec
	s_or_b64 s[92:93], s[22:23], s[92:93]
	s_andn2_b64 s[22:23], s[90:91], exec
	s_and_b64 s[90:91], s[30:31], exec
	s_or_b64 s[90:91], s[22:23], s[90:91]
.LBB2_218:                              ;   in Loop: Header=BB2_219 Depth=4
	s_or_b64 exec, exec, s[94:95]
	s_and_b64 s[22:23], exec, s[90:91]
	s_or_b64 s[78:79], s[22:23], s[78:79]
	s_andn2_b64 s[22:23], s[88:89], exec
	s_and_b64 s[88:89], s[92:93], exec
	s_or_b64 s[88:89], s[22:23], s[88:89]
	s_andn2_b64 exec, exec, s[78:79]
	s_cbranch_execz .LBB2_223
.LBB2_219:                              ;   Parent Loop BB2_53 Depth=1
                                        ;     Parent Loop BB2_89 Depth=2
                                        ;       Parent Loop BB2_213 Depth=3
                                        ; =>      This Inner Loop Header: Depth=4
	s_sleep 1
	s_waitcnt vmcnt(0) lgkmcnt(0)
	flat_load_dwordx2 v[22:23], v[16:17] glc
	s_or_b64 s[92:93], s[92:93], exec
	s_or_b64 s[90:91], s[90:91], exec
                                        ; implicit-def: $vgpr25
	s_and_saveexec_b64 s[94:95], vcc
	s_cbranch_execz .LBB2_218
; %bb.220:                              ;   in Loop: Header=BB2_219 Depth=4
	s_cmpk_lt_i32 s55, 0x270f
	s_cselect_b64 s[36:37], -1, 0
	s_cmpk_gt_i32 s55, 0x270e
	s_mov_b64 s[30:31], -1
	s_cbranch_scc0 .LBB2_222
; %bb.221:                              ;   in Loop: Header=BB2_219 Depth=4
	s_trap 2
	ds_read_b64 v[24:25], v0
	s_andn2_b64 s[36:37], s[36:37], exec
	s_mov_b32 s55, 0
	s_mov_b64 s[34:35], 0
	s_waitcnt vmcnt(0) lgkmcnt(0)
	flat_load_dword v25, v[24:25] glc
	s_waitcnt vmcnt(0) lgkmcnt(0)
	buffer_wbinvl1_vol
	v_cmp_eq_u32_e64 s[22:23], 0, v25
	s_and_b64 s[22:23], s[22:23], exec
	s_or_b64 s[36:37], s[36:37], s[22:23]
	s_and_saveexec_b64 s[38:39], s[36:37]
	s_cbranch_execz .LBB2_217
	s_branch .LBB2_216
.LBB2_222:                              ;   in Loop: Header=BB2_219 Depth=4
	s_add_i32 s55, s55, 1
	s_mov_b64 s[34:35], -1
                                        ; implicit-def: $vgpr25
	s_and_saveexec_b64 s[38:39], s[36:37]
	s_cbranch_execz .LBB2_217
	s_branch .LBB2_216
.LBB2_223:                              ;   in Loop: Header=BB2_213 Depth=3
	s_or_b64 exec, exec, s[78:79]
	s_xor_b64 s[22:23], s[88:89], -1
	s_and_saveexec_b64 s[78:79], s[22:23]
	s_xor_b64 s[22:23], exec, s[78:79]
	s_cbranch_execz .LBB2_225
; %bb.224:                              ;   in Loop: Header=BB2_213 Depth=3
	v_or_b32_e32 v48, 64, v48
	s_waitcnt lgkmcnt(0)
	ds_write_b32 v0, v25
	s_trap 2
.LBB2_225:                              ;   in Loop: Header=BB2_213 Depth=3
	s_or_b64 exec, exec, s[22:23]
.LBB2_226:                              ;   in Loop: Header=BB2_213 Depth=3
	s_or_b64 exec, exec, s[76:77]
	v_and_b32_e32 v24, 0x100, v48
	v_cmp_ne_u32_e32 vcc, 0, v24
	v_and_b32_e32 v24, 7, v50
	s_mov_b64 s[22:23], -1
	;;#ASMSTART
	s_wakeup
	;;#ASMEND
                                        ; implicit-def: $vgpr50_vgpr51
	s_and_saveexec_b64 s[76:77], vcc
	s_cbranch_execz .LBB2_230
; %bb.227:                              ;   in Loop: Header=BB2_213 Depth=3
	v_mad_u64_u32 v[42:43], s[22:23], v24, 24, v[4:5]
	v_ashrrev_i32_e32 v55, 31, v54
                                        ; implicit-def: $vgpr50_vgpr51
	flat_load_dword v25, v[42:43]
	s_nop 0
	flat_store_dwordx2 v[42:43], v[54:55] offset:8
	s_waitcnt vmcnt(0) lgkmcnt(0)
	v_cmp_ne_u32_e32 vcc, 1, v25
	v_cmp_eq_u32_e64 s[22:23], 1, v25
	s_and_saveexec_b64 s[78:79], s[22:23]
	s_cbranch_execz .LBB2_229
; %bb.228:                              ;   in Loop: Header=BB2_213 Depth=3
	flat_load_dword v50, v[42:43] offset:4 glc
	s_waitcnt vmcnt(0) lgkmcnt(0)
	v_ashrrev_i32_e32 v51, 31, v50
.LBB2_229:                              ;   in Loop: Header=BB2_213 Depth=3
	s_or_b64 exec, exec, s[78:79]
	s_orn2_b64 s[22:23], vcc, exec
.LBB2_230:                              ;   in Loop: Header=BB2_213 Depth=3
	s_or_b64 exec, exec, s[76:77]
	s_and_saveexec_b64 s[76:77], s[22:23]
; %bb.231:                              ;   in Loop: Header=BB2_213 Depth=3
	v_mad_i64_i32 v[50:51], s[22:23], v24, v49, 0
; %bb.232:                              ;   in Loop: Header=BB2_213 Depth=3
	s_or_b64 exec, exec, s[76:77]
	v_add_co_u32_e32 v24, vcc, v18, v50
	v_addc_co_u32_e32 v25, vcc, v19, v51, vcc
	ds_write_b64 v0, v[24:25] offset:784
	v_and_b32_e32 v24, 0x2000, v48
	v_cmp_ne_u32_e32 vcc, 0, v24
	s_and_saveexec_b64 s[22:23], vcc
	s_cbranch_execz .LBB2_234
; %bb.233:                              ;   in Loop: Header=BB2_213 Depth=3
	ds_read_b64 v[24:25], v0 offset:872
	s_waitcnt lgkmcnt(0)
	v_add_co_u32_e32 v24, vcc, 1, v24
	v_addc_co_u32_e32 v25, vcc, 0, v25, vcc
	ds_write_b64 v0, v[24:25] offset:872
.LBB2_234:                              ;   in Loop: Header=BB2_213 Depth=3
	s_or_b64 exec, exec, s[22:23]
	v_mov_b32_e32 v51, v41
	v_mov_b32_e32 v50, v40
.LBB2_235:                              ;   in Loop: Header=BB2_213 Depth=3
	s_or_b64 exec, exec, s[74:75]
	s_xor_b64 s[22:23], s[72:73], -1
	s_and_b64 s[22:23], exec, s[22:23]
	s_or_b64 s[62:63], s[22:23], s[62:63]
	s_and_saveexec_b64 s[22:23], s[6:7]
	s_cbranch_execz .LBB2_254
; %bb.236:                              ;   in Loop: Header=BB2_213 Depth=3
	s_and_saveexec_b64 s[72:73], s[28:29]
	s_xor_b64 s[72:73], exec, s[72:73]
	s_cbranch_execz .LBB2_251
; %bb.237:                              ;   in Loop: Header=BB2_213 Depth=3
	s_and_saveexec_b64 s[74:75], s[12:13]
	s_cbranch_execz .LBB2_250
; %bb.238:                              ;   in Loop: Header=BB2_213 Depth=3
	s_mov_b64 s[78:79], exec
	v_mbcnt_lo_u32_b32 v24, s78, 0
	v_mbcnt_hi_u32_b32 v24, s79, v24
	v_cmp_eq_u32_e32 vcc, 0, v24
	s_waitcnt vmcnt(0) lgkmcnt(0)
	buffer_wbinvl1_vol
	s_and_saveexec_b64 s[76:77], vcc
	s_cbranch_execz .LBB2_240
; %bb.239:                              ;   in Loop: Header=BB2_213 Depth=3
	s_bcnt1_i32_b64 s78, s[78:79]
	v_mov_b32_e32 v24, s78
	v_mov_b32_e32 v25, v32
	ds_add_u64 v0, v[24:25]
	s_trap 2
.LBB2_240:                              ;   in Loop: Header=BB2_213 Depth=3
	s_or_b64 exec, exec, s[76:77]
	s_trap 2
	ds_read_b64 v[24:25], v0
	s_waitcnt lgkmcnt(0)
	v_add_co_u32_e32 v10, vcc, v10, v31
	v_addc_co_u32_e32 v11, vcc, 0, v11, vcc
	v_cmp_lt_u64_e32 vcc, v[24:25], v[10:11]
	s_and_saveexec_b64 s[76:77], vcc
	s_cbranch_execz .LBB2_249
; %bb.241:                              ;   in Loop: Header=BB2_213 Depth=3
	s_mov_b32 s30, 0
	s_mov_b64 s[78:79], 0
                                        ; implicit-def: $sgpr88_sgpr89
                                        ; implicit-def: $sgpr90_sgpr91
	s_branch .LBB2_243
.LBB2_242:                              ;   in Loop: Header=BB2_243 Depth=4
	s_or_b64 exec, exec, s[94:95]
	s_and_b64 s[92:93], exec, vcc
	s_or_b64 s[78:79], s[92:93], s[78:79]
	s_andn2_b64 s[88:89], s[88:89], exec
	s_and_b64 s[92:93], s[90:91], exec
	s_or_b64 s[88:89], s[88:89], s[92:93]
	s_andn2_b64 exec, exec, s[78:79]
	s_cbranch_execz .LBB2_247
.LBB2_243:                              ;   Parent Loop BB2_53 Depth=1
                                        ;     Parent Loop BB2_89 Depth=2
                                        ;       Parent Loop BB2_213 Depth=3
                                        ; =>      This Inner Loop Header: Depth=4
	s_add_i32 s30, s30, 1
	s_cmpk_lg_i32 s30, 0x2710
	s_cselect_b64 s[92:93], -1, 0
	s_and_b64 vcc, exec, s[92:93]
	s_cbranch_vccz .LBB2_245
; %bb.244:                              ;   in Loop: Header=BB2_243 Depth=4
	s_mov_b64 vcc, -1
	s_or_b64 s[90:91], s[90:91], exec
	s_and_saveexec_b64 s[94:95], s[92:93]
	s_cbranch_execz .LBB2_242
	s_branch .LBB2_246
.LBB2_245:                              ;   in Loop: Header=BB2_243 Depth=4
	s_trap 2
	ds_read_b64 v[24:25], v0
	s_andn2_b64 s[92:93], s[92:93], exec
	s_mov_b32 s30, 0
	s_waitcnt lgkmcnt(0)
	flat_load_dword v24, v[24:25] glc
	s_waitcnt vmcnt(0) lgkmcnt(0)
	buffer_wbinvl1_vol
	v_cmp_eq_u32_e32 vcc, 0, v24
	s_and_b64 s[94:95], vcc, exec
	s_or_b64 s[92:93], s[92:93], s[94:95]
	s_mov_b64 vcc, -1
	s_or_b64 s[90:91], s[90:91], exec
	s_and_saveexec_b64 s[94:95], s[92:93]
	s_cbranch_execz .LBB2_242
.LBB2_246:                              ;   in Loop: Header=BB2_243 Depth=4
	s_sleep 1
	s_trap 2
	ds_read_b64 v[24:25], v0
	s_waitcnt lgkmcnt(0)
	s_andn2_b64 s[90:91], s[90:91], exec
	v_cmp_ge_u64_e32 vcc, v[24:25], v[10:11]
	s_orn2_b64 vcc, vcc, exec
	s_branch .LBB2_242
.LBB2_247:                              ;   in Loop: Header=BB2_213 Depth=3
	s_or_b64 exec, exec, s[78:79]
	s_and_saveexec_b64 s[78:79], s[88:89]
	s_xor_b64 s[78:79], exec, s[78:79]
	s_cbranch_execz .LBB2_249
; %bb.248:                              ;   in Loop: Header=BB2_213 Depth=3
	ds_write_b32 v0, v1
	s_trap 2
.LBB2_249:                              ;   in Loop: Header=BB2_213 Depth=3
	s_or_b64 exec, exec, s[76:77]
	;;#ASMSTART
	s_wakeup
	;;#ASMEND
.LBB2_250:                              ;   in Loop: Header=BB2_213 Depth=3
	s_or_b64 exec, exec, s[74:75]
.LBB2_251:                              ;   in Loop: Header=BB2_213 Depth=3
	s_andn2_saveexec_b64 s[72:73], s[72:73]
	s_cbranch_execz .LBB2_253
; %bb.252:                              ;   in Loop: Header=BB2_213 Depth=3
	s_waitcnt vmcnt(0) lgkmcnt(0)
	buffer_wbinvl1_vol
	s_barrier
.LBB2_253:                              ;   in Loop: Header=BB2_213 Depth=3
	s_or_b64 exec, exec, s[72:73]
.LBB2_254:                              ;   in Loop: Header=BB2_213 Depth=3
	s_or_b64 exec, exec, s[22:23]
	s_trap 2
	ds_read_b32 v24, v0
	v_cmp_lt_i32_e32 vcc, 0, v54
	s_waitcnt lgkmcnt(0)
	v_readfirstlane_b32 s22, v24
	s_cmp_eq_u32 s22, 0
	s_cselect_b64 s[22:23], -1, 0
	v_and_b32_e32 v24, 16, v48
	s_and_b64 s[22:23], vcc, s[22:23]
	v_cmp_ne_u32_e32 vcc, 0, v24
	s_and_b64 s[72:73], vcc, s[22:23]
	s_and_saveexec_b64 s[22:23], s[72:73]
	s_cbranch_execz .LBB2_256
; %bb.255:                              ;   in Loop: Header=BB2_213 Depth=3
	s_waitcnt vmcnt(0)
	buffer_wbinvl1_vol
.LBB2_256:                              ;   in Loop: Header=BB2_213 Depth=3
	s_or_b64 exec, exec, s[22:23]
	v_cmp_ne_u32_e32 vcc, 0, v24
	s_and_saveexec_b64 s[22:23], vcc
	s_cbranch_execz .LBB2_212
; %bb.257:                              ;   in Loop: Header=BB2_213 Depth=3
	s_and_saveexec_b64 s[72:73], s[20:21]
	s_cbranch_execz .LBB2_211
; %bb.258:                              ;   in Loop: Header=BB2_213 Depth=3
	flat_store_dword v[20:21], v1
	s_branch .LBB2_211
.LBB2_259:                              ;   in Loop: Header=BB2_89 Depth=2
	s_or_b64 exec, exec, s[62:63]
	s_or_b64 exec, exec, s[60:61]
	v_cmp_gt_i32_e32 vcc, 2, v24
	s_and_saveexec_b64 s[60:61], vcc
	s_cbranch_execnz .LBB2_210
.LBB2_260:                              ;   in Loop: Header=BB2_89 Depth=2
	s_or_b64 exec, exec, s[60:61]
	s_andn2_b64 vcc, exec, s[56:57]
	s_cbranch_vccz .LBB2_262
	s_branch .LBB2_444
.LBB2_261:                              ;   in Loop: Header=BB2_89 Depth=2
	s_or_b64 exec, exec, s[62:63]
	s_or_b64 exec, exec, s[60:61]
	s_andn2_b64 vcc, exec, s[56:57]
	s_cbranch_vccnz .LBB2_444
.LBB2_262:                              ;   in Loop: Header=BB2_89 Depth=2
	v_max_i32_e32 v25, 0, v8
	v_add_u32_e32 v8, 31, v25
	v_lshrrev_b32_e32 v8, 1, v8
	v_and_b32_e32 v8, 0x3ffffff0, v8
	s_mov_b32 s55, 0
	v_max_i32_e32 v44, s51, v8
	s_branch .LBB2_265
.LBB2_263:                              ;   in Loop: Header=BB2_265 Depth=3
	s_or_b64 exec, exec, s[62:63]
.LBB2_264:                              ;   in Loop: Header=BB2_265 Depth=3
	s_or_b64 exec, exec, s[60:61]
	s_add_i32 s55, s55, 1
	s_cmp_eq_u32 s55, s49
	s_cbranch_scc1 .LBB2_444
.LBB2_265:                              ;   Parent Loop BB2_53 Depth=1
                                        ;     Parent Loop BB2_89 Depth=2
                                        ; =>    This Loop Header: Depth=3
                                        ;         Child Loop BB2_268 Depth 4
                                        ;           Child Loop BB2_276 Depth 5
                                        ;           Child Loop BB2_304 Depth 5
	;; [unrolled: 1-line block ×8, first 2 shown]
                                        ;         Child Loop BB2_393 Depth 4
                                        ;           Child Loop BB2_399 Depth 5
                                        ;           Child Loop BB2_427 Depth 5
	v_mov_b32_e32 v9, 0
	v_mov_b32_e32 v8, v44
	v_mov_b32_e32 v45, 0
	s_and_saveexec_b64 s[60:61], s[58:59]
	s_cbranch_execz .LBB2_390
; %bb.266:                              ;   in Loop: Header=BB2_265 Depth=3
	s_mov_b32 s64, 1
	s_mov_b64 s[72:73], -1
	v_mov_b32_e32 v45, 0
	s_mov_b64 s[62:63], 0
	v_mov_b32_e32 v8, v44
	s_branch .LBB2_268
.LBB2_267:                              ;   in Loop: Header=BB2_268 Depth=4
	s_or_b64 exec, exec, s[22:23]
	v_add_u32_e32 v45, v8, v45
	v_cmp_ge_i32_e32 vcc, v45, v25
	s_xor_b64 s[22:23], s[72:73], -1
	s_or_b64 s[22:23], s[22:23], vcc
	s_and_b64 s[22:23], exec, s[22:23]
	s_or_b64 s[62:63], s[22:23], s[62:63]
	s_mov_b64 s[72:73], 0
	v_mov_b32_e32 v9, s64
	s_mov_b32 s64, 2
	s_andn2_b64 exec, exec, s[62:63]
	s_cbranch_execz .LBB2_389
.LBB2_268:                              ;   Parent Loop BB2_53 Depth=1
                                        ;     Parent Loop BB2_89 Depth=2
                                        ;       Parent Loop BB2_265 Depth=3
                                        ; =>      This Loop Header: Depth=4
                                        ;           Child Loop BB2_276 Depth 5
                                        ;           Child Loop BB2_304 Depth 5
	;; [unrolled: 1-line block ×8, first 2 shown]
	s_and_saveexec_b64 s[22:23], s[4:5]
	s_cbranch_execz .LBB2_270
; %bb.269:                              ;   in Loop: Header=BB2_268 Depth=4
	v_mov_b32_e32 v33, v32
	ds_write_b64 v0, v[32:33]
	s_trap 2
.LBB2_270:                              ;   in Loop: Header=BB2_268 Depth=4
	s_or_b64 exec, exec, s[22:23]
	v_sub_u32_e32 v9, v25, v45
	v_min_i32_e32 v8, v8, v9
	v_and_b32_e32 v9, 12, v48
	v_cmp_ne_u32_e32 vcc, 0, v9
	s_and_saveexec_b64 s[74:75], vcc
	s_cbranch_execz .LBB2_296
; %bb.271:                              ;   in Loop: Header=BB2_268 Depth=4
	v_and_b32_e32 v33, 8, v48
	s_waitcnt vmcnt(0)
	v_add_co_u32_e32 v27, vcc, v22, v33
	v_addc_co_u32_e32 v28, vcc, 0, v23, vcc
	v_add_co_u32_e32 v54, vcc, 2, v50
	v_addc_co_u32_e32 v55, vcc, 0, v51, vcc
	v_cmp_lt_u64_e32 vcc, v[27:28], v[54:55]
	s_and_saveexec_b64 s[76:77], vcc
	s_cbranch_execz .LBB2_283
; %bb.272:                              ;   in Loop: Header=BB2_268 Depth=4
	v_and_b32_e32 v9, 64, v48
	s_mov_b32 s65, 0
	v_cmp_eq_u32_e32 vcc, 0, v9
	s_mov_b64 s[78:79], 0
                                        ; implicit-def: $sgpr88_sgpr89
                                        ; implicit-def: $sgpr90_sgpr91
                                        ; implicit-def: $sgpr92_sgpr93
	s_branch .LBB2_276
.LBB2_273:                              ;   in Loop: Header=BB2_276 Depth=5
	s_waitcnt vmcnt(0) lgkmcnt(0)
	v_add_co_u32_e64 v27, s[22:23], v22, v33
	v_addc_co_u32_e64 v28, s[22:23], 0, v23, s[22:23]
	v_cmp_ge_u64_e64 s[22:23], v[27:28], v[54:55]
	s_or_b64 s[34:35], s[34:35], exec
	s_orn2_b64 s[30:31], s[22:23], exec
.LBB2_274:                              ;   in Loop: Header=BB2_276 Depth=5
	s_or_b64 exec, exec, s[38:39]
	s_andn2_b64 s[22:23], s[92:93], exec
	s_and_b64 s[92:93], s[34:35], exec
	s_or_b64 s[92:93], s[22:23], s[92:93]
	s_andn2_b64 s[22:23], s[90:91], exec
	s_and_b64 s[90:91], s[30:31], exec
	s_or_b64 s[90:91], s[22:23], s[90:91]
.LBB2_275:                              ;   in Loop: Header=BB2_276 Depth=5
	s_or_b64 exec, exec, s[94:95]
	s_and_b64 s[22:23], exec, s[90:91]
	s_or_b64 s[78:79], s[22:23], s[78:79]
	s_andn2_b64 s[22:23], s[88:89], exec
	s_and_b64 s[88:89], s[92:93], exec
	s_or_b64 s[88:89], s[22:23], s[88:89]
	s_andn2_b64 exec, exec, s[78:79]
	s_cbranch_execz .LBB2_280
.LBB2_276:                              ;   Parent Loop BB2_53 Depth=1
                                        ;     Parent Loop BB2_89 Depth=2
                                        ;       Parent Loop BB2_265 Depth=3
                                        ;         Parent Loop BB2_268 Depth=4
                                        ; =>        This Inner Loop Header: Depth=5
	s_sleep 1
	s_waitcnt vmcnt(0) lgkmcnt(0)
	flat_load_dwordx2 v[22:23], v[16:17] glc
	s_or_b64 s[92:93], s[92:93], exec
	s_or_b64 s[90:91], s[90:91], exec
                                        ; implicit-def: $vgpr9
	s_and_saveexec_b64 s[94:95], vcc
	s_cbranch_execz .LBB2_275
; %bb.277:                              ;   in Loop: Header=BB2_276 Depth=5
	s_cmpk_lt_i32 s65, 0x270f
	s_cselect_b64 s[36:37], -1, 0
	s_cmpk_gt_i32 s65, 0x270e
	s_mov_b64 s[30:31], -1
	s_cbranch_scc0 .LBB2_279
; %bb.278:                              ;   in Loop: Header=BB2_276 Depth=5
	s_trap 2
	ds_read_b64 v[27:28], v0
	s_andn2_b64 s[36:37], s[36:37], exec
	s_mov_b32 s65, 0
	s_mov_b64 s[34:35], 0
	s_waitcnt vmcnt(0) lgkmcnt(0)
	flat_load_dword v9, v[27:28] glc
	s_waitcnt vmcnt(0) lgkmcnt(0)
	buffer_wbinvl1_vol
	v_cmp_eq_u32_e64 s[22:23], 0, v9
	s_and_b64 s[22:23], s[22:23], exec
	s_or_b64 s[36:37], s[36:37], s[22:23]
	s_and_saveexec_b64 s[38:39], s[36:37]
	s_cbranch_execz .LBB2_274
	s_branch .LBB2_273
.LBB2_279:                              ;   in Loop: Header=BB2_276 Depth=5
	s_add_i32 s65, s65, 1
	s_mov_b64 s[34:35], -1
                                        ; implicit-def: $vgpr9
	s_and_saveexec_b64 s[38:39], s[36:37]
	s_cbranch_execz .LBB2_274
	s_branch .LBB2_273
.LBB2_280:                              ;   in Loop: Header=BB2_268 Depth=4
	s_or_b64 exec, exec, s[78:79]
	s_xor_b64 s[22:23], s[88:89], -1
	s_and_saveexec_b64 s[78:79], s[22:23]
	s_xor_b64 s[22:23], exec, s[78:79]
	s_cbranch_execz .LBB2_282
; %bb.281:                              ;   in Loop: Header=BB2_268 Depth=4
	v_or_b32_e32 v48, 64, v48
	s_waitcnt lgkmcnt(0)
	ds_write_b32 v0, v9
	s_trap 2
.LBB2_282:                              ;   in Loop: Header=BB2_268 Depth=4
	s_or_b64 exec, exec, s[22:23]
.LBB2_283:                              ;   in Loop: Header=BB2_268 Depth=4
	s_or_b64 exec, exec, s[76:77]
	v_and_b32_e32 v9, 0x108, v48
	v_cmp_ne_u32_e32 vcc, s54, v9
	v_and_b32_e32 v42, 7, v50
	;;#ASMSTART
	s_wakeup
	;;#ASMEND
	s_and_saveexec_b64 s[22:23], vcc
	s_xor_b64 s[22:23], exec, s[22:23]
                                        ; implicit-def: $vgpr43
; %bb.284:                              ;   in Loop: Header=BB2_268 Depth=4
	v_mov_b32_e32 v43, v32
; %bb.285:                              ;   in Loop: Header=BB2_268 Depth=4
	s_andn2_saveexec_b64 s[22:23], s[22:23]
	s_cbranch_execz .LBB2_287
; %bb.286:                              ;   in Loop: Header=BB2_268 Depth=4
	v_mad_u64_u32 v[27:28], s[76:77], v42, 24, v[4:5]
	v_mov_b32_e32 v43, v32
	v_ashrrev_i32_e32 v9, 31, v8
	flat_store_dwordx2 v[27:28], v[8:9] offset:8
.LBB2_287:                              ;   in Loop: Header=BB2_268 Depth=4
	s_or_b64 exec, exec, s[22:23]
	v_and_b32_e32 v9, 0x100, v48
	v_cmp_ne_u32_e32 vcc, 0, v9
	s_mov_b64 s[22:23], -1
                                        ; implicit-def: $vgpr50_vgpr51
	s_and_saveexec_b64 s[76:77], vcc
	s_cbranch_execz .LBB2_291
; %bb.288:                              ;   in Loop: Header=BB2_268 Depth=4
	v_mad_u64_u32 v[40:41], s[22:23], v42, 24, v[4:5]
                                        ; implicit-def: $vgpr50_vgpr51
	v_mov_b32_e32 v9, v41
	v_mad_u64_u32 v[27:28], s[22:23], v43, 24, v[9:10]
	v_mov_b32_e32 v41, v27
	flat_load_dword v9, v[40:41]
	s_waitcnt vmcnt(0) lgkmcnt(0)
	v_cmp_ne_u32_e32 vcc, 1, v9
	v_cmp_eq_u32_e64 s[22:23], 1, v9
	s_and_saveexec_b64 s[78:79], s[22:23]
	s_cbranch_execz .LBB2_290
; %bb.289:                              ;   in Loop: Header=BB2_268 Depth=4
	flat_load_dword v50, v[40:41] offset:4 glc
	s_waitcnt vmcnt(0) lgkmcnt(0)
	v_ashrrev_i32_e32 v51, 31, v50
.LBB2_290:                              ;   in Loop: Header=BB2_268 Depth=4
	s_or_b64 exec, exec, s[78:79]
	s_orn2_b64 s[22:23], vcc, exec
.LBB2_291:                              ;   in Loop: Header=BB2_268 Depth=4
	s_or_b64 exec, exec, s[76:77]
	s_and_saveexec_b64 s[76:77], s[22:23]
	s_cbranch_execz .LBB2_293
; %bb.292:                              ;   in Loop: Header=BB2_268 Depth=4
	v_mul_lo_u32 v9, v43, v49
	v_mul_lo_u32 v13, v42, v35
	v_mad_u64_u32 v[50:51], s[22:23], v42, v49, 0
	v_add3_u32 v51, v51, v13, v9
.LBB2_293:                              ;   in Loop: Header=BB2_268 Depth=4
	s_or_b64 exec, exec, s[76:77]
	v_cmp_eq_u32_e32 vcc, 0, v33
	v_cndmask_b32_e32 v9, v2, v26, vcc
	v_add_co_u32_e32 v27, vcc, v18, v50
	v_addc_co_u32_e32 v28, vcc, v19, v51, vcc
	v_add_u32_e32 v9, v0, v9
	ds_write_b64 v9, v[27:28] offset:584
	v_and_b32_e32 v9, 0x2000, v48
	v_cmp_ne_u32_e32 vcc, 0, v9
	s_and_saveexec_b64 s[22:23], vcc
	s_cbranch_execz .LBB2_295
; %bb.294:                              ;   in Loop: Header=BB2_268 Depth=4
	ds_read_b64 v[27:28], v0 offset:872
	s_waitcnt lgkmcnt(0)
	v_add_co_u32_e32 v27, vcc, 1, v27
	v_addc_co_u32_e32 v28, vcc, 0, v28, vcc
	ds_write_b64 v0, v[27:28] offset:872
.LBB2_295:                              ;   in Loop: Header=BB2_268 Depth=4
	s_or_b64 exec, exec, s[22:23]
	v_mov_b32_e32 v50, v54
	v_mov_b32_e32 v51, v55
.LBB2_296:                              ;   in Loop: Header=BB2_268 Depth=4
	s_or_b64 exec, exec, s[74:75]
	s_and_saveexec_b64 s[22:23], s[6:7]
	s_cbranch_execz .LBB2_315
; %bb.297:                              ;   in Loop: Header=BB2_268 Depth=4
	s_and_saveexec_b64 s[74:75], s[28:29]
	s_xor_b64 s[74:75], exec, s[74:75]
	s_cbranch_execz .LBB2_312
; %bb.298:                              ;   in Loop: Header=BB2_268 Depth=4
	s_and_saveexec_b64 s[76:77], s[12:13]
	s_cbranch_execz .LBB2_311
; %bb.299:                              ;   in Loop: Header=BB2_268 Depth=4
	s_mov_b64 s[88:89], exec
	v_mbcnt_lo_u32_b32 v9, s88, 0
	v_mbcnt_hi_u32_b32 v9, s89, v9
	v_cmp_eq_u32_e32 vcc, 0, v9
	s_waitcnt vmcnt(0) lgkmcnt(0)
	buffer_wbinvl1_vol
	s_and_saveexec_b64 s[78:79], vcc
	s_cbranch_execz .LBB2_301
; %bb.300:                              ;   in Loop: Header=BB2_268 Depth=4
	s_bcnt1_i32_b64 s88, s[88:89]
	v_mov_b32_e32 v27, s88
	v_mov_b32_e32 v28, v32
	ds_add_u64 v0, v[27:28]
	s_trap 2
.LBB2_301:                              ;   in Loop: Header=BB2_268 Depth=4
	s_or_b64 exec, exec, s[78:79]
	s_trap 2
	ds_read_b64 v[27:28], v0
	s_waitcnt lgkmcnt(0)
	v_add_co_u32_e32 v10, vcc, v10, v31
	v_addc_co_u32_e32 v11, vcc, 0, v11, vcc
	v_cmp_lt_u64_e32 vcc, v[27:28], v[10:11]
	s_and_saveexec_b64 s[78:79], vcc
	s_cbranch_execz .LBB2_310
; %bb.302:                              ;   in Loop: Header=BB2_268 Depth=4
	s_mov_b32 s34, 0
	s_mov_b64 s[88:89], 0
                                        ; implicit-def: $sgpr90_sgpr91
                                        ; implicit-def: $sgpr92_sgpr93
	s_branch .LBB2_304
.LBB2_303:                              ;   in Loop: Header=BB2_304 Depth=5
	s_or_b64 exec, exec, s[30:31]
	s_and_b64 s[94:95], exec, vcc
	s_or_b64 s[88:89], s[94:95], s[88:89]
	s_andn2_b64 s[90:91], s[90:91], exec
	s_and_b64 s[94:95], s[92:93], exec
	s_or_b64 s[90:91], s[90:91], s[94:95]
	s_andn2_b64 exec, exec, s[88:89]
	s_cbranch_execz .LBB2_308
.LBB2_304:                              ;   Parent Loop BB2_53 Depth=1
                                        ;     Parent Loop BB2_89 Depth=2
                                        ;       Parent Loop BB2_265 Depth=3
                                        ;         Parent Loop BB2_268 Depth=4
                                        ; =>        This Inner Loop Header: Depth=5
	s_add_i32 s34, s34, 1
	s_cmpk_lg_i32 s34, 0x2710
	s_cselect_b64 s[94:95], -1, 0
	s_and_b64 vcc, exec, s[94:95]
	s_cbranch_vccz .LBB2_306
; %bb.305:                              ;   in Loop: Header=BB2_304 Depth=5
	s_mov_b64 vcc, -1
	s_or_b64 s[92:93], s[92:93], exec
	s_and_saveexec_b64 s[30:31], s[94:95]
	s_cbranch_execz .LBB2_303
	s_branch .LBB2_307
.LBB2_306:                              ;   in Loop: Header=BB2_304 Depth=5
	s_trap 2
	ds_read_b64 v[27:28], v0
	s_andn2_b64 s[94:95], s[94:95], exec
	s_mov_b32 s34, 0
	s_waitcnt lgkmcnt(0)
	flat_load_dword v9, v[27:28] glc
	s_waitcnt vmcnt(0) lgkmcnt(0)
	buffer_wbinvl1_vol
	v_cmp_eq_u32_e32 vcc, 0, v9
	s_and_b64 vcc, vcc, exec
	s_or_b64 s[94:95], s[94:95], vcc
	s_mov_b64 vcc, -1
	s_or_b64 s[92:93], s[92:93], exec
	s_and_saveexec_b64 s[30:31], s[94:95]
	s_cbranch_execz .LBB2_303
.LBB2_307:                              ;   in Loop: Header=BB2_304 Depth=5
	s_sleep 1
	s_trap 2
	ds_read_b64 v[27:28], v0
	s_waitcnt lgkmcnt(0)
	s_andn2_b64 s[92:93], s[92:93], exec
	v_cmp_ge_u64_e32 vcc, v[27:28], v[10:11]
	s_orn2_b64 vcc, vcc, exec
	s_branch .LBB2_303
.LBB2_308:                              ;   in Loop: Header=BB2_268 Depth=4
	s_or_b64 exec, exec, s[88:89]
	s_and_saveexec_b64 s[88:89], s[90:91]
	s_xor_b64 s[88:89], exec, s[88:89]
	s_cbranch_execz .LBB2_310
; %bb.309:                              ;   in Loop: Header=BB2_268 Depth=4
	ds_write_b32 v0, v1
	s_trap 2
.LBB2_310:                              ;   in Loop: Header=BB2_268 Depth=4
	s_or_b64 exec, exec, s[78:79]
	;;#ASMSTART
	s_wakeup
	;;#ASMEND
.LBB2_311:                              ;   in Loop: Header=BB2_268 Depth=4
	s_or_b64 exec, exec, s[76:77]
.LBB2_312:                              ;   in Loop: Header=BB2_268 Depth=4
	s_andn2_saveexec_b64 s[74:75], s[74:75]
	s_cbranch_execz .LBB2_314
; %bb.313:                              ;   in Loop: Header=BB2_268 Depth=4
	s_waitcnt vmcnt(0) lgkmcnt(0)
	buffer_wbinvl1_vol
	s_barrier
.LBB2_314:                              ;   in Loop: Header=BB2_268 Depth=4
	s_or_b64 exec, exec, s[74:75]
.LBB2_315:                              ;   in Loop: Header=BB2_268 Depth=4
	s_or_b64 exec, exec, s[22:23]
	s_trap 2
	ds_read_b32 v9, v0
	v_and_b32_e32 v13, 0x4000, v48
	v_cmp_ne_u32_e32 vcc, 0, v13
	s_xor_b64 s[22:23], s[16:17], -1
	s_and_b64 s[74:75], s[22:23], vcc
	s_and_saveexec_b64 s[22:23], s[74:75]
	s_cbranch_execz .LBB2_334
; %bb.316:                              ;   in Loop: Header=BB2_268 Depth=4
	s_and_saveexec_b64 s[74:75], s[28:29]
	s_xor_b64 s[74:75], exec, s[74:75]
	s_cbranch_execz .LBB2_331
; %bb.317:                              ;   in Loop: Header=BB2_268 Depth=4
	s_and_saveexec_b64 s[76:77], s[12:13]
	s_cbranch_execz .LBB2_330
; %bb.318:                              ;   in Loop: Header=BB2_268 Depth=4
	s_mov_b64 s[88:89], exec
	v_mbcnt_lo_u32_b32 v13, s88, 0
	v_mbcnt_hi_u32_b32 v13, s89, v13
	v_cmp_eq_u32_e32 vcc, 0, v13
	s_waitcnt vmcnt(0) lgkmcnt(0)
	buffer_wbinvl1_vol
	s_and_saveexec_b64 s[78:79], vcc
	s_cbranch_execz .LBB2_320
; %bb.319:                              ;   in Loop: Header=BB2_268 Depth=4
	s_bcnt1_i32_b64 s88, s[88:89]
	v_mov_b32_e32 v27, s88
	v_mov_b32_e32 v28, v32
	ds_add_u64 v0, v[27:28]
	s_trap 2
.LBB2_320:                              ;   in Loop: Header=BB2_268 Depth=4
	s_or_b64 exec, exec, s[78:79]
	s_trap 2
	ds_read_b64 v[27:28], v0
	s_waitcnt lgkmcnt(0)
	v_add_co_u32_e32 v10, vcc, v10, v31
	v_addc_co_u32_e32 v11, vcc, 0, v11, vcc
	v_cmp_lt_u64_e32 vcc, v[27:28], v[10:11]
	s_and_saveexec_b64 s[78:79], vcc
	s_cbranch_execz .LBB2_329
; %bb.321:                              ;   in Loop: Header=BB2_268 Depth=4
	s_mov_b32 s34, 0
	s_mov_b64 s[88:89], 0
                                        ; implicit-def: $sgpr90_sgpr91
                                        ; implicit-def: $sgpr92_sgpr93
	s_branch .LBB2_323
.LBB2_322:                              ;   in Loop: Header=BB2_323 Depth=5
	s_or_b64 exec, exec, s[30:31]
	s_and_b64 s[94:95], exec, vcc
	s_or_b64 s[88:89], s[94:95], s[88:89]
	s_andn2_b64 s[90:91], s[90:91], exec
	s_and_b64 s[94:95], s[92:93], exec
	s_or_b64 s[90:91], s[90:91], s[94:95]
	s_andn2_b64 exec, exec, s[88:89]
	s_cbranch_execz .LBB2_327
.LBB2_323:                              ;   Parent Loop BB2_53 Depth=1
                                        ;     Parent Loop BB2_89 Depth=2
                                        ;       Parent Loop BB2_265 Depth=3
                                        ;         Parent Loop BB2_268 Depth=4
                                        ; =>        This Inner Loop Header: Depth=5
	s_add_i32 s34, s34, 1
	s_cmpk_lg_i32 s34, 0x2710
	s_cselect_b64 s[94:95], -1, 0
	s_and_b64 vcc, exec, s[94:95]
	s_cbranch_vccz .LBB2_325
; %bb.324:                              ;   in Loop: Header=BB2_323 Depth=5
	s_mov_b64 vcc, -1
	s_or_b64 s[92:93], s[92:93], exec
	s_and_saveexec_b64 s[30:31], s[94:95]
	s_cbranch_execz .LBB2_322
	s_branch .LBB2_326
.LBB2_325:                              ;   in Loop: Header=BB2_323 Depth=5
	s_trap 2
	ds_read_b64 v[27:28], v0
	s_andn2_b64 s[94:95], s[94:95], exec
	s_mov_b32 s34, 0
	s_waitcnt lgkmcnt(0)
	flat_load_dword v13, v[27:28] glc
	s_waitcnt vmcnt(0) lgkmcnt(0)
	buffer_wbinvl1_vol
	v_cmp_eq_u32_e32 vcc, 0, v13
	s_and_b64 vcc, vcc, exec
	s_or_b64 s[94:95], s[94:95], vcc
	s_mov_b64 vcc, -1
	s_or_b64 s[92:93], s[92:93], exec
	s_and_saveexec_b64 s[30:31], s[94:95]
	s_cbranch_execz .LBB2_322
.LBB2_326:                              ;   in Loop: Header=BB2_323 Depth=5
	s_sleep 1
	s_trap 2
	ds_read_b64 v[27:28], v0
	s_waitcnt lgkmcnt(0)
	s_andn2_b64 s[92:93], s[92:93], exec
	v_cmp_ge_u64_e32 vcc, v[27:28], v[10:11]
	s_orn2_b64 vcc, vcc, exec
	s_branch .LBB2_322
.LBB2_327:                              ;   in Loop: Header=BB2_268 Depth=4
	s_or_b64 exec, exec, s[88:89]
	s_and_saveexec_b64 s[88:89], s[90:91]
	s_xor_b64 s[88:89], exec, s[88:89]
	s_cbranch_execz .LBB2_329
; %bb.328:                              ;   in Loop: Header=BB2_268 Depth=4
	ds_write_b32 v0, v1
	s_trap 2
.LBB2_329:                              ;   in Loop: Header=BB2_268 Depth=4
	s_or_b64 exec, exec, s[78:79]
	;;#ASMSTART
	s_wakeup
	;;#ASMEND
.LBB2_330:                              ;   in Loop: Header=BB2_268 Depth=4
	s_or_b64 exec, exec, s[76:77]
.LBB2_331:                              ;   in Loop: Header=BB2_268 Depth=4
	s_andn2_saveexec_b64 s[74:75], s[74:75]
	s_cbranch_execz .LBB2_333
; %bb.332:                              ;   in Loop: Header=BB2_268 Depth=4
	s_waitcnt vmcnt(0) lgkmcnt(0)
	buffer_wbinvl1_vol
	s_barrier
.LBB2_333:                              ;   in Loop: Header=BB2_268 Depth=4
	s_or_b64 exec, exec, s[74:75]
.LBB2_334:                              ;   in Loop: Header=BB2_268 Depth=4
	s_or_b64 exec, exec, s[22:23]
	s_trap 2
	ds_read_b64 v[54:55], v0
	s_waitcnt lgkmcnt(0)
	v_cmp_eq_u64_e32 vcc, 0, v[54:55]
	s_cbranch_vccnz .LBB2_342
; %bb.335:                              ;   in Loop: Header=BB2_268 Depth=4
	s_trap 2
	ds_read_b64 v[40:41], v0
	s_waitcnt lgkmcnt(0)
	v_cmp_eq_u64_e32 vcc, 0, v[40:41]
	s_cbranch_vccnz .LBB2_342
; %bb.336:                              ;   in Loop: Header=BB2_268 Depth=4
	s_mov_b64 s[22:23], -1
	s_and_saveexec_b64 s[74:75], s[14:15]
	s_cbranch_execz .LBB2_338
; %bb.337:                              ;   in Loop: Header=BB2_268 Depth=4
	ds_read_b32 v13, v0 offset:720
	s_waitcnt lgkmcnt(0)
	v_and_b32_e32 v13, 15, v13
	v_cmp_eq_u32_e32 vcc, 0, v13
	s_orn2_b64 s[22:23], vcc, exec
.LBB2_338:                              ;   in Loop: Header=BB2_268 Depth=4
	s_or_b64 exec, exec, s[74:75]
	s_and_saveexec_b64 s[74:75], s[14:15]
	s_cbranch_execz .LBB2_340
; %bb.339:                              ;   in Loop: Header=BB2_268 Depth=4
	ds_read_b32 v13, v0 offset:784
	s_waitcnt lgkmcnt(0)
	v_and_b32_e32 v13, 15, v13
	v_cmp_eq_u32_e32 vcc, 0, v13
	s_and_b64 s[76:77], s[22:23], vcc
	s_andn2_b64 s[22:23], s[22:23], exec
	s_and_b64 s[76:77], s[76:77], exec
	s_or_b64 s[22:23], s[22:23], s[76:77]
.LBB2_340:                              ;   in Loop: Header=BB2_268 Depth=4
	s_or_b64 exec, exec, s[74:75]
	v_cmp_eq_u32_e32 vcc, 0, v9
	s_xor_b64 s[22:23], s[22:23], -1
	v_cndmask_b32_e32 v9, 0, v8, vcc
	v_cndmask_b32_e64 v13, 0, 1, s[22:23]
	s_mov_b64 s[76:77], -1
	v_cmp_ne_u32_e32 vcc, 0, v13
	v_mov_b32_e32 v33, 0
	v_mov_b32_e32 v42, v9
	;; [unrolled: 1-line block ×4, first 2 shown]
	s_cbranch_vccz .LBB2_343
; %bb.341:                              ;   in Loop: Header=BB2_268 Depth=4
	s_and_saveexec_b64 s[22:23], s[76:77]
	s_cbranch_execnz .LBB2_356
	s_branch .LBB2_364
.LBB2_342:                              ;   in Loop: Header=BB2_268 Depth=4
	s_mov_b64 s[22:23], 0
	s_and_saveexec_b64 s[74:75], s[6:7]
	s_cbranch_execnz .LBB2_365
	s_branch .LBB2_383
.LBB2_343:                              ;   in Loop: Header=BB2_268 Depth=4
	v_ashrrev_i32_e32 v13, 31, v9
	v_lshrrev_b32_e32 v13, 21, v13
	v_add_u32_e32 v13, v9, v13
	v_ashrrev_i32_e32 v33, 11, v13
	v_sub_u32_e32 v24, v33, v36
	v_cmp_lt_i32_e32 vcc, 0, v24
	s_and_saveexec_b64 s[22:23], vcc
	s_cbranch_execz .LBB2_347
; %bb.344:                              ;   in Loop: Header=BB2_268 Depth=4
	v_mov_b32_e32 v43, v39
	s_mov_b64 s[74:75], 0
	v_mov_b32_e32 v42, v38
.LBB2_345:                              ;   Parent Loop BB2_53 Depth=1
                                        ;     Parent Loop BB2_89 Depth=2
                                        ;       Parent Loop BB2_265 Depth=3
                                        ;         Parent Loop BB2_268 Depth=4
                                        ; =>        This Inner Loop Header: Depth=5
	v_add_co_u32_e32 v46, vcc, v54, v42
	v_addc_co_u32_e32 v47, vcc, v55, v43, vcc
	global_load_dwordx4 v[27:30], v[46:47], off glc slc
	global_load_dwordx4 v[56:59], v[46:47], off offset:1024 glc slc
	v_add_co_u32_e32 v46, vcc, v40, v42
	v_addc_co_u32_e32 v47, vcc, v41, v43, vcc
	v_add_co_u32_e32 v42, vcc, v42, v14
	v_sub_u32_e32 v24, v24, v31
	v_addc_co_u32_e32 v43, vcc, 0, v43, vcc
	v_cmp_gt_i32_e32 vcc, 1, v24
	s_or_b64 s[74:75], vcc, s[74:75]
	s_waitcnt vmcnt(0)
	global_store_dwordx4 v[46:47], v[27:30], off glc slc
	global_store_dwordx4 v[46:47], v[56:59], off offset:1024 glc slc
	s_andn2_b64 exec, exec, s[74:75]
	s_cbranch_execnz .LBB2_345
; %bb.346:                              ;   in Loop: Header=BB2_268 Depth=4
	s_or_b64 exec, exec, s[74:75]
.LBB2_347:                              ;   in Loop: Header=BB2_268 Depth=4
	s_or_b64 exec, exec, s[22:23]
	v_lshlrev_b32_e32 v46, 11, v33
	v_cmp_ne_u32_e32 vcc, v9, v46
	s_mov_b64 s[76:77], 0
	v_mov_b32_e32 v33, 0
                                        ; implicit-def: $vgpr42
                                        ; implicit-def: $vgpr43
                                        ; implicit-def: $vgpr47
	s_and_saveexec_b64 s[74:75], vcc
	s_cbranch_execz .LBB2_355
; %bb.348:                              ;   in Loop: Header=BB2_268 Depth=4
	v_lshlrev_b32_e32 v24, 6, v24
	v_sub_u32_e32 v24, v12, v24
	v_ashrrev_i32_e32 v27, 31, v24
	v_lshrrev_b32_e32 v27, 26, v27
	v_add_u32_e32 v27, v24, v27
	v_sub_u32_e32 v13, v9, v46
	v_ashrrev_i32_e32 v28, 6, v27
	v_and_b32_e32 v27, 0xffffffc0, v27
	v_sub_u32_e32 v56, v24, v27
	v_ashrrev_i32_e32 v27, 31, v13
	v_lshrrev_b32_e32 v27, 22, v27
	v_add_u32_e32 v27, v13, v27
	v_and_b32_e32 v57, 0xfffffc00, v27
	v_lshlrev_b32_e32 v24, 4, v56
	v_sub_u32_e32 v59, v13, v57
	v_lshl_add_u32 v33, v28, 10, v24
	v_ashrrev_i32_e32 v29, 10, v27
	v_cmp_lt_i32_e32 vcc, 15, v59
	v_sub_u32_e32 v24, v13, v33
	v_addc_co_u32_e64 v13, s[22:23], 0, v29, vcc
	v_sub_u32_e32 v58, v13, v28
	v_cmp_lt_i32_e64 s[22:23], 15, v24
	s_and_saveexec_b64 s[76:77], s[22:23]
	s_cbranch_execz .LBB2_352
; %bb.349:                              ;   in Loop: Header=BB2_268 Depth=4
	v_add_u32_e32 v33, v33, v46
	v_ashrrev_i32_e32 v42, 31, v33
	s_mov_b64 s[78:79], 0
.LBB2_350:                              ;   Parent Loop BB2_53 Depth=1
                                        ;     Parent Loop BB2_89 Depth=2
                                        ;       Parent Loop BB2_265 Depth=3
                                        ;         Parent Loop BB2_268 Depth=4
                                        ; =>        This Inner Loop Header: Depth=5
	v_add_co_u32_e64 v27, s[22:23], v54, v33
	v_addc_co_u32_e64 v28, s[22:23], v55, v42, s[22:23]
	global_load_dwordx4 v[27:30], v[27:28], off glc slc
	v_add_co_u32_e64 v60, s[22:23], v40, v33
	v_addc_co_u32_e64 v61, s[22:23], v41, v42, s[22:23]
	v_add_co_u32_e64 v33, s[22:23], v33, v15
	v_sub_u32_e32 v24, v24, v15
	v_addc_co_u32_e64 v42, s[22:23], 0, v42, s[22:23]
	v_cmp_gt_i32_e64 s[22:23], 16, v24
	v_sub_u32_e32 v58, v58, v31
	s_or_b64 s[78:79], s[22:23], s[78:79]
	s_waitcnt vmcnt(0)
	global_store_dwordx4 v[60:61], v[27:30], off glc slc
	s_andn2_b64 exec, exec, s[78:79]
	s_cbranch_execnz .LBB2_350
; %bb.351:                              ;   in Loop: Header=BB2_268 Depth=4
	s_or_b64 exec, exec, s[78:79]
.LBB2_352:                              ;   in Loop: Header=BB2_268 Depth=4
	s_or_b64 exec, exec, s[76:77]
	v_and_b32_e32 v24, 15, v9
	v_cndmask_b32_e32 v42, v59, v24, vcc
	v_mov_b32_e32 v33, 0
	v_cmp_ne_u32_e64 s[22:23], 0, v42
	s_mov_b64 s[78:79], 0
                                        ; implicit-def: $vgpr43
                                        ; implicit-def: $vgpr47
	s_and_saveexec_b64 s[76:77], s[22:23]
	s_cbranch_execz .LBB2_354
; %bb.353:                              ;   in Loop: Header=BB2_268 Depth=4
	v_sub_u32_e32 v13, v59, v24
	v_cndmask_b32_e32 v13, 0, v13, vcc
	v_cmp_lt_i32_e32 vcc, 0, v58
	v_add3_u32 v33, v57, v46, v13
	v_cndmask_b32_e32 v13, 0, v31, vcc
	v_sub_u32_e32 v13, v13, v58
	v_lshl_add_u32 v43, v13, 6, v56
	v_ashrrev_i32_e32 v13, 31, v43
	v_lshrrev_b32_e32 v13, 26, v13
	v_add_u32_e32 v13, v43, v13
	v_ashrrev_i32_e32 v47, 6, v13
	s_mov_b64 s[78:79], exec
.LBB2_354:                              ;   in Loop: Header=BB2_268 Depth=4
	s_or_b64 exec, exec, s[76:77]
	s_and_b64 s[76:77], s[78:79], exec
.LBB2_355:                              ;   in Loop: Header=BB2_268 Depth=4
	s_or_b64 exec, exec, s[74:75]
	s_and_saveexec_b64 s[22:23], s[76:77]
	s_cbranch_execz .LBB2_364
.LBB2_356:                              ;   in Loop: Header=BB2_268 Depth=4
	v_ashrrev_i32_e32 v13, 31, v42
	v_lshrrev_b32_e32 v13, 23, v13
	v_add_u32_e32 v13, v42, v13
	v_ashrrev_i32_e32 v57, 9, v13
	v_sub_u32_e32 v46, v57, v47
	v_ashrrev_i32_e32 v13, 31, v43
	v_cmp_lt_i32_e32 vcc, 0, v46
	v_lshrrev_b32_e32 v56, 26, v13
	s_and_saveexec_b64 s[74:75], vcc
	s_cbranch_execz .LBB2_360
; %bb.357:                              ;   in Loop: Header=BB2_268 Depth=4
	v_add_u32_e32 v13, v43, v56
	v_and_b32_e32 v13, 0xffffffc0, v13
	v_sub_u32_e32 v13, v43, v13
	v_lshlrev_b32_e32 v24, 9, v47
	v_add3_u32 v24, v33, v13, v24
	v_ashrrev_i32_e32 v47, 31, v24
	s_mov_b64 s[76:77], 0
.LBB2_358:                              ;   Parent Loop BB2_53 Depth=1
                                        ;     Parent Loop BB2_89 Depth=2
                                        ;       Parent Loop BB2_265 Depth=3
                                        ;         Parent Loop BB2_268 Depth=4
                                        ; =>        This Inner Loop Header: Depth=5
	v_add_co_u32_e32 v27, vcc, v24, v54
	v_addc_co_u32_e32 v28, vcc, v47, v55, vcc
	flat_load_ubyte v13, v[27:28] glc slc
	flat_load_ubyte v29, v[27:28] offset:64 glc slc
	flat_load_ubyte v30, v[27:28] offset:128 glc slc
	;; [unrolled: 1-line block ×7, first 2 shown]
	v_add_co_u32_e32 v27, vcc, v24, v40
	v_addc_co_u32_e32 v28, vcc, v47, v41, vcc
	v_add_co_u32_e32 v54, vcc, v54, v34
	v_addc_co_u32_e32 v55, vcc, 0, v55, vcc
	v_add_co_u32_e32 v40, vcc, v40, v34
	v_sub_u32_e32 v46, v46, v31
	v_addc_co_u32_e32 v41, vcc, 0, v41, vcc
	v_cmp_gt_i32_e32 vcc, 1, v46
	s_or_b64 s[76:77], vcc, s[76:77]
	s_waitcnt vmcnt(0) lgkmcnt(0)
	flat_store_byte v[27:28], v13 glc slc
	flat_store_byte v[27:28], v29 offset:64 glc slc
	flat_store_byte v[27:28], v30 offset:128 glc slc
	;; [unrolled: 1-line block ×7, first 2 shown]
	s_andn2_b64 exec, exec, s[76:77]
	s_cbranch_execnz .LBB2_358
; %bb.359:                              ;   in Loop: Header=BB2_268 Depth=4
	s_or_b64 exec, exec, s[76:77]
.LBB2_360:                              ;   in Loop: Header=BB2_268 Depth=4
	s_or_b64 exec, exec, s[74:75]
	v_lshlrev_b32_e32 v24, 9, v57
	v_cmp_ne_u32_e32 vcc, v42, v24
	s_and_b64 exec, exec, vcc
	s_cbranch_execz .LBB2_364
; %bb.361:                              ;   in Loop: Header=BB2_268 Depth=4
	v_add_u32_e32 v13, v43, v56
	v_and_b32_e32 v13, 0xffffffc0, v13
	v_sub_u32_e32 v13, v43, v13
	v_lshlrev_b32_e32 v27, 6, v46
	v_sub_u32_e32 v13, v13, v27
	v_add_u32_e32 v54, v24, v13
	v_sub_u32_e32 v24, v42, v54
	v_cmp_lt_i32_e32 vcc, 0, v24
	s_and_b64 exec, exec, vcc
	s_cbranch_execz .LBB2_364
; %bb.362:                              ;   in Loop: Header=BB2_268 Depth=4
	v_add_u32_e32 v33, v54, v33
	s_trap 2
	ds_read_b64 v[54:55], v0
	v_ashrrev_i32_e32 v40, 31, v33
	s_mov_b64 s[74:75], 0
.LBB2_363:                              ;   Parent Loop BB2_53 Depth=1
                                        ;     Parent Loop BB2_89 Depth=2
                                        ;       Parent Loop BB2_265 Depth=3
                                        ;         Parent Loop BB2_268 Depth=4
                                        ; =>        This Inner Loop Header: Depth=5
	s_waitcnt lgkmcnt(0)
	v_add_co_u32_e32 v27, vcc, v54, v33
	v_addc_co_u32_e32 v28, vcc, v55, v40, vcc
	flat_load_ubyte v13, v[27:28] glc slc
	v_add_co_u32_e32 v33, vcc, v33, v3
	v_sub_u32_e32 v24, v24, v3
	v_addc_co_u32_e32 v40, vcc, 0, v40, vcc
	v_cmp_gt_i32_e32 vcc, 1, v24
	s_or_b64 s[74:75], vcc, s[74:75]
	s_waitcnt vmcnt(0) lgkmcnt(0)
	flat_store_byte v[27:28], v13 glc slc
	s_andn2_b64 exec, exec, s[74:75]
	s_cbranch_execnz .LBB2_363
.LBB2_364:                              ;   in Loop: Header=BB2_268 Depth=4
	s_or_b64 exec, exec, s[22:23]
	v_cmp_lt_i32_e64 s[22:23], 0, v9
	s_and_saveexec_b64 s[74:75], s[6:7]
	s_cbranch_execz .LBB2_383
.LBB2_365:                              ;   in Loop: Header=BB2_268 Depth=4
	s_and_saveexec_b64 s[76:77], s[28:29]
	s_xor_b64 s[76:77], exec, s[76:77]
	s_cbranch_execz .LBB2_380
; %bb.366:                              ;   in Loop: Header=BB2_268 Depth=4
	s_and_saveexec_b64 s[78:79], s[12:13]
	s_cbranch_execz .LBB2_379
; %bb.367:                              ;   in Loop: Header=BB2_268 Depth=4
	s_mov_b64 s[90:91], exec
	v_mbcnt_lo_u32_b32 v9, s90, 0
	v_mbcnt_hi_u32_b32 v9, s91, v9
	v_cmp_eq_u32_e32 vcc, 0, v9
	s_waitcnt vmcnt(0) lgkmcnt(0)
	buffer_wbinvl1_vol
	s_and_saveexec_b64 s[88:89], vcc
	s_cbranch_execz .LBB2_369
; %bb.368:                              ;   in Loop: Header=BB2_268 Depth=4
	s_bcnt1_i32_b64 s90, s[90:91]
	v_mov_b32_e32 v27, s90
	v_mov_b32_e32 v28, v32
	ds_add_u64 v0, v[27:28]
	s_trap 2
.LBB2_369:                              ;   in Loop: Header=BB2_268 Depth=4
	s_or_b64 exec, exec, s[88:89]
	s_trap 2
	ds_read_b64 v[27:28], v0
	s_waitcnt lgkmcnt(0)
	v_add_co_u32_e32 v10, vcc, v10, v31
	v_addc_co_u32_e32 v11, vcc, 0, v11, vcc
	v_cmp_lt_u64_e32 vcc, v[27:28], v[10:11]
	s_and_saveexec_b64 s[88:89], vcc
	s_cbranch_execz .LBB2_378
; %bb.370:                              ;   in Loop: Header=BB2_268 Depth=4
	s_mov_b32 s36, 0
	s_mov_b64 s[90:91], 0
                                        ; implicit-def: $sgpr92_sgpr93
                                        ; implicit-def: $sgpr94_sgpr95
	s_branch .LBB2_372
.LBB2_371:                              ;   in Loop: Header=BB2_372 Depth=5
	s_or_b64 exec, exec, s[34:35]
	s_and_b64 vcc, exec, vcc
	s_or_b64 s[90:91], vcc, s[90:91]
	s_andn2_b64 s[92:93], s[92:93], exec
	s_and_b64 vcc, s[94:95], exec
	s_or_b64 s[92:93], s[92:93], vcc
	s_andn2_b64 exec, exec, s[90:91]
	s_cbranch_execz .LBB2_376
.LBB2_372:                              ;   Parent Loop BB2_53 Depth=1
                                        ;     Parent Loop BB2_89 Depth=2
                                        ;       Parent Loop BB2_265 Depth=3
                                        ;         Parent Loop BB2_268 Depth=4
                                        ; =>        This Inner Loop Header: Depth=5
	s_add_i32 s36, s36, 1
	s_cmpk_lg_i32 s36, 0x2710
	s_cselect_b64 s[30:31], -1, 0
	s_and_b64 vcc, exec, s[30:31]
	s_cbranch_vccz .LBB2_374
; %bb.373:                              ;   in Loop: Header=BB2_372 Depth=5
	s_mov_b64 vcc, -1
	s_or_b64 s[94:95], s[94:95], exec
	s_and_saveexec_b64 s[34:35], s[30:31]
	s_cbranch_execz .LBB2_371
	s_branch .LBB2_375
.LBB2_374:                              ;   in Loop: Header=BB2_372 Depth=5
	s_trap 2
	ds_read_b64 v[27:28], v0
	s_andn2_b64 s[30:31], s[30:31], exec
	s_mov_b32 s36, 0
	s_waitcnt lgkmcnt(0)
	flat_load_dword v9, v[27:28] glc
	s_waitcnt vmcnt(0) lgkmcnt(0)
	buffer_wbinvl1_vol
	v_cmp_eq_u32_e32 vcc, 0, v9
	s_and_b64 vcc, vcc, exec
	s_or_b64 s[30:31], s[30:31], vcc
	s_mov_b64 vcc, -1
	s_or_b64 s[94:95], s[94:95], exec
	s_and_saveexec_b64 s[34:35], s[30:31]
	s_cbranch_execz .LBB2_371
.LBB2_375:                              ;   in Loop: Header=BB2_372 Depth=5
	s_sleep 1
	s_trap 2
	ds_read_b64 v[27:28], v0
	s_waitcnt lgkmcnt(0)
	s_andn2_b64 s[94:95], s[94:95], exec
	v_cmp_ge_u64_e32 vcc, v[27:28], v[10:11]
	s_orn2_b64 vcc, vcc, exec
	s_branch .LBB2_371
.LBB2_376:                              ;   in Loop: Header=BB2_268 Depth=4
	s_or_b64 exec, exec, s[90:91]
	s_and_saveexec_b64 s[90:91], s[92:93]
	s_xor_b64 s[90:91], exec, s[90:91]
	s_cbranch_execz .LBB2_378
; %bb.377:                              ;   in Loop: Header=BB2_268 Depth=4
	ds_write_b32 v0, v1
	s_trap 2
.LBB2_378:                              ;   in Loop: Header=BB2_268 Depth=4
	s_or_b64 exec, exec, s[88:89]
	;;#ASMSTART
	s_wakeup
	;;#ASMEND
.LBB2_379:                              ;   in Loop: Header=BB2_268 Depth=4
	s_or_b64 exec, exec, s[78:79]
.LBB2_380:                              ;   in Loop: Header=BB2_268 Depth=4
	s_andn2_saveexec_b64 s[76:77], s[76:77]
	s_cbranch_execz .LBB2_382
; %bb.381:                              ;   in Loop: Header=BB2_268 Depth=4
	s_waitcnt vmcnt(0) lgkmcnt(0)
	buffer_wbinvl1_vol
	s_barrier
.LBB2_382:                              ;   in Loop: Header=BB2_268 Depth=4
	s_or_b64 exec, exec, s[76:77]
.LBB2_383:                              ;   in Loop: Header=BB2_268 Depth=4
	s_or_b64 exec, exec, s[74:75]
	v_and_b32_e32 v9, 16, v48
	v_cmp_ne_u32_e32 vcc, 0, v9
	s_and_b64 s[74:75], vcc, s[22:23]
	s_and_saveexec_b64 s[22:23], s[74:75]
	s_cbranch_execz .LBB2_385
; %bb.384:                              ;   in Loop: Header=BB2_268 Depth=4
	s_waitcnt vmcnt(0) lgkmcnt(0)
	buffer_wbinvl1_vol
.LBB2_385:                              ;   in Loop: Header=BB2_268 Depth=4
	s_or_b64 exec, exec, s[22:23]
	v_cmp_ne_u32_e32 vcc, 0, v9
	s_xor_b64 s[22:23], s[18:19], -1
	s_and_b64 s[74:75], vcc, s[22:23]
	s_and_saveexec_b64 s[22:23], s[74:75]
	s_cbranch_execz .LBB2_387
; %bb.386:                              ;   in Loop: Header=BB2_268 Depth=4
	flat_store_dword v[20:21], v1
.LBB2_387:                              ;   in Loop: Header=BB2_268 Depth=4
	s_or_b64 exec, exec, s[22:23]
	v_and_b32_e32 v9, 48, v48
	v_cmp_ne_u32_e32 vcc, 0, v9
	s_and_saveexec_b64 s[22:23], vcc
	s_cbranch_execz .LBB2_267
; %bb.388:                              ;   in Loop: Header=BB2_268 Depth=4
	v_add_co_u32_e32 v50, vcc, 2, v50
	v_addc_co_u32_e32 v51, vcc, 0, v51, vcc
	flat_store_dwordx2 v[16:17], v[50:51]
	s_branch .LBB2_267
.LBB2_389:                              ;   in Loop: Header=BB2_265 Depth=3
	s_or_b64 exec, exec, s[62:63]
.LBB2_390:                              ;   in Loop: Header=BB2_265 Depth=3
	s_or_b64 exec, exec, s[60:61]
	v_cmp_gt_i32_e32 vcc, 2, v9
	s_and_saveexec_b64 s[60:61], vcc
	s_cbranch_execz .LBB2_264
; %bb.391:                              ;   in Loop: Header=BB2_265 Depth=3
	v_cmp_eq_u32_e64 s[72:73], 0, v9
	s_mov_b64 s[62:63], 0
	s_branch .LBB2_393
.LBB2_392:                              ;   in Loop: Header=BB2_393 Depth=4
	s_or_b64 exec, exec, s[22:23]
	v_add_u32_e32 v45, v8, v45
	s_mov_b64 s[72:73], 0
	s_andn2_b64 exec, exec, s[62:63]
	s_cbranch_execz .LBB2_263
.LBB2_393:                              ;   Parent Loop BB2_53 Depth=1
                                        ;     Parent Loop BB2_89 Depth=2
                                        ;       Parent Loop BB2_265 Depth=3
                                        ; =>      This Loop Header: Depth=4
                                        ;           Child Loop BB2_399 Depth 5
                                        ;           Child Loop BB2_427 Depth 5
	v_sub_u32_e32 v9, v25, v45
	v_min_i32_e32 v8, v8, v9
	v_and_b32_e32 v9, 12, v48
	v_cmp_ne_u32_e32 vcc, 0, v9
	s_and_saveexec_b64 s[74:75], vcc
	s_cbranch_execz .LBB2_419
; %bb.394:                              ;   in Loop: Header=BB2_393 Depth=4
	v_and_b32_e32 v33, 8, v48
	s_waitcnt vmcnt(0)
	v_add_co_u32_e32 v27, vcc, v22, v33
	v_addc_co_u32_e32 v28, vcc, 0, v23, vcc
	v_add_co_u32_e32 v54, vcc, 2, v50
	v_addc_co_u32_e32 v55, vcc, 0, v51, vcc
	v_cmp_lt_u64_e32 vcc, v[27:28], v[54:55]
	s_and_saveexec_b64 s[76:77], vcc
	s_cbranch_execz .LBB2_406
; %bb.395:                              ;   in Loop: Header=BB2_393 Depth=4
	v_and_b32_e32 v9, 64, v48
	s_mov_b32 s64, 0
	v_cmp_eq_u32_e32 vcc, 0, v9
	s_mov_b64 s[78:79], 0
                                        ; implicit-def: $sgpr88_sgpr89
                                        ; implicit-def: $sgpr90_sgpr91
                                        ; implicit-def: $sgpr92_sgpr93
	s_branch .LBB2_399
.LBB2_396:                              ;   in Loop: Header=BB2_399 Depth=5
	s_waitcnt vmcnt(0) lgkmcnt(0)
	v_add_co_u32_e64 v27, s[22:23], v22, v33
	v_addc_co_u32_e64 v28, s[22:23], 0, v23, s[22:23]
	v_cmp_ge_u64_e64 s[22:23], v[27:28], v[54:55]
	s_or_b64 s[34:35], s[34:35], exec
	s_orn2_b64 s[30:31], s[22:23], exec
.LBB2_397:                              ;   in Loop: Header=BB2_399 Depth=5
	s_or_b64 exec, exec, s[38:39]
	s_andn2_b64 s[22:23], s[92:93], exec
	s_and_b64 s[92:93], s[34:35], exec
	s_or_b64 s[92:93], s[22:23], s[92:93]
	s_andn2_b64 s[22:23], s[90:91], exec
	s_and_b64 s[90:91], s[30:31], exec
	s_or_b64 s[90:91], s[22:23], s[90:91]
.LBB2_398:                              ;   in Loop: Header=BB2_399 Depth=5
	s_or_b64 exec, exec, s[94:95]
	s_and_b64 s[22:23], exec, s[90:91]
	s_or_b64 s[78:79], s[22:23], s[78:79]
	s_andn2_b64 s[22:23], s[88:89], exec
	s_and_b64 s[88:89], s[92:93], exec
	s_or_b64 s[88:89], s[22:23], s[88:89]
	s_andn2_b64 exec, exec, s[78:79]
	s_cbranch_execz .LBB2_403
.LBB2_399:                              ;   Parent Loop BB2_53 Depth=1
                                        ;     Parent Loop BB2_89 Depth=2
                                        ;       Parent Loop BB2_265 Depth=3
                                        ;         Parent Loop BB2_393 Depth=4
                                        ; =>        This Inner Loop Header: Depth=5
	s_sleep 1
	s_waitcnt vmcnt(0) lgkmcnt(0)
	flat_load_dwordx2 v[22:23], v[16:17] glc
	s_or_b64 s[92:93], s[92:93], exec
	s_or_b64 s[90:91], s[90:91], exec
                                        ; implicit-def: $vgpr9
	s_and_saveexec_b64 s[94:95], vcc
	s_cbranch_execz .LBB2_398
; %bb.400:                              ;   in Loop: Header=BB2_399 Depth=5
	s_cmpk_lt_i32 s64, 0x270f
	s_cselect_b64 s[36:37], -1, 0
	s_cmpk_gt_i32 s64, 0x270e
	s_mov_b64 s[30:31], -1
	s_cbranch_scc0 .LBB2_402
; %bb.401:                              ;   in Loop: Header=BB2_399 Depth=5
	s_trap 2
	ds_read_b64 v[27:28], v0
	s_andn2_b64 s[36:37], s[36:37], exec
	s_mov_b32 s64, 0
	s_mov_b64 s[34:35], 0
	s_waitcnt vmcnt(0) lgkmcnt(0)
	flat_load_dword v9, v[27:28] glc
	s_waitcnt vmcnt(0) lgkmcnt(0)
	buffer_wbinvl1_vol
	v_cmp_eq_u32_e64 s[22:23], 0, v9
	s_and_b64 s[22:23], s[22:23], exec
	s_or_b64 s[36:37], s[36:37], s[22:23]
	s_and_saveexec_b64 s[38:39], s[36:37]
	s_cbranch_execz .LBB2_397
	s_branch .LBB2_396
.LBB2_402:                              ;   in Loop: Header=BB2_399 Depth=5
	s_add_i32 s64, s64, 1
	s_mov_b64 s[34:35], -1
                                        ; implicit-def: $vgpr9
	s_and_saveexec_b64 s[38:39], s[36:37]
	s_cbranch_execz .LBB2_397
	s_branch .LBB2_396
.LBB2_403:                              ;   in Loop: Header=BB2_393 Depth=4
	s_or_b64 exec, exec, s[78:79]
	s_xor_b64 s[22:23], s[88:89], -1
	s_and_saveexec_b64 s[78:79], s[22:23]
	s_xor_b64 s[22:23], exec, s[78:79]
	s_cbranch_execz .LBB2_405
; %bb.404:                              ;   in Loop: Header=BB2_393 Depth=4
	v_or_b32_e32 v48, 64, v48
	s_waitcnt lgkmcnt(0)
	ds_write_b32 v0, v9
	s_trap 2
.LBB2_405:                              ;   in Loop: Header=BB2_393 Depth=4
	s_or_b64 exec, exec, s[22:23]
.LBB2_406:                              ;   in Loop: Header=BB2_393 Depth=4
	s_or_b64 exec, exec, s[76:77]
	v_and_b32_e32 v9, 0x108, v48
	v_cmp_ne_u32_e32 vcc, s54, v9
	v_and_b32_e32 v42, 7, v50
	;;#ASMSTART
	s_wakeup
	;;#ASMEND
	s_and_saveexec_b64 s[22:23], vcc
	s_xor_b64 s[22:23], exec, s[22:23]
                                        ; implicit-def: $vgpr43
; %bb.407:                              ;   in Loop: Header=BB2_393 Depth=4
	v_mov_b32_e32 v43, v32
; %bb.408:                              ;   in Loop: Header=BB2_393 Depth=4
	s_andn2_saveexec_b64 s[22:23], s[22:23]
	s_cbranch_execz .LBB2_410
; %bb.409:                              ;   in Loop: Header=BB2_393 Depth=4
	v_mad_u64_u32 v[27:28], s[76:77], v42, 24, v[4:5]
	v_mov_b32_e32 v43, v32
	v_ashrrev_i32_e32 v9, 31, v8
	flat_store_dwordx2 v[27:28], v[8:9] offset:8
.LBB2_410:                              ;   in Loop: Header=BB2_393 Depth=4
	s_or_b64 exec, exec, s[22:23]
	v_and_b32_e32 v9, 0x100, v48
	v_cmp_ne_u32_e32 vcc, 0, v9
	s_mov_b64 s[22:23], -1
                                        ; implicit-def: $vgpr50_vgpr51
	s_and_saveexec_b64 s[76:77], vcc
	s_cbranch_execz .LBB2_414
; %bb.411:                              ;   in Loop: Header=BB2_393 Depth=4
	v_mad_u64_u32 v[40:41], s[22:23], v42, 24, v[4:5]
                                        ; implicit-def: $vgpr50_vgpr51
	v_mov_b32_e32 v9, v41
	v_mad_u64_u32 v[27:28], s[22:23], v43, 24, v[9:10]
	v_mov_b32_e32 v41, v27
	flat_load_dword v9, v[40:41]
	s_waitcnt vmcnt(0) lgkmcnt(0)
	v_cmp_ne_u32_e32 vcc, 1, v9
	v_cmp_eq_u32_e64 s[22:23], 1, v9
	s_and_saveexec_b64 s[78:79], s[22:23]
	s_cbranch_execz .LBB2_413
; %bb.412:                              ;   in Loop: Header=BB2_393 Depth=4
	flat_load_dword v50, v[40:41] offset:4 glc
	s_waitcnt vmcnt(0) lgkmcnt(0)
	v_ashrrev_i32_e32 v51, 31, v50
.LBB2_413:                              ;   in Loop: Header=BB2_393 Depth=4
	s_or_b64 exec, exec, s[78:79]
	s_orn2_b64 s[22:23], vcc, exec
.LBB2_414:                              ;   in Loop: Header=BB2_393 Depth=4
	s_or_b64 exec, exec, s[76:77]
	s_and_saveexec_b64 s[76:77], s[22:23]
	s_cbranch_execz .LBB2_416
; %bb.415:                              ;   in Loop: Header=BB2_393 Depth=4
	v_mul_lo_u32 v9, v43, v49
	v_mul_lo_u32 v13, v42, v35
	v_mad_u64_u32 v[50:51], s[22:23], v42, v49, 0
	v_add3_u32 v51, v51, v13, v9
.LBB2_416:                              ;   in Loop: Header=BB2_393 Depth=4
	s_or_b64 exec, exec, s[76:77]
	v_cmp_eq_u32_e32 vcc, 0, v33
	v_cndmask_b32_e32 v9, v2, v26, vcc
	v_add_co_u32_e32 v27, vcc, v18, v50
	v_addc_co_u32_e32 v28, vcc, v19, v51, vcc
	v_add_u32_e32 v9, v0, v9
	ds_write_b64 v9, v[27:28] offset:584
	v_and_b32_e32 v9, 0x2000, v48
	v_cmp_ne_u32_e32 vcc, 0, v9
	s_and_saveexec_b64 s[22:23], vcc
	s_cbranch_execz .LBB2_418
; %bb.417:                              ;   in Loop: Header=BB2_393 Depth=4
	ds_read_b64 v[27:28], v0 offset:872
	s_waitcnt lgkmcnt(0)
	v_add_co_u32_e32 v27, vcc, 1, v27
	v_addc_co_u32_e32 v28, vcc, 0, v28, vcc
	ds_write_b64 v0, v[27:28] offset:872
.LBB2_418:                              ;   in Loop: Header=BB2_393 Depth=4
	s_or_b64 exec, exec, s[22:23]
	v_mov_b32_e32 v50, v54
	v_mov_b32_e32 v51, v55
.LBB2_419:                              ;   in Loop: Header=BB2_393 Depth=4
	s_or_b64 exec, exec, s[74:75]
	s_xor_b64 s[22:23], s[72:73], -1
	s_and_b64 s[22:23], exec, s[22:23]
	s_or_b64 s[62:63], s[22:23], s[62:63]
	s_and_saveexec_b64 s[22:23], s[6:7]
	s_cbranch_execz .LBB2_438
; %bb.420:                              ;   in Loop: Header=BB2_393 Depth=4
	s_and_saveexec_b64 s[72:73], s[28:29]
	s_xor_b64 s[72:73], exec, s[72:73]
	s_cbranch_execz .LBB2_435
; %bb.421:                              ;   in Loop: Header=BB2_393 Depth=4
	s_and_saveexec_b64 s[74:75], s[12:13]
	s_cbranch_execz .LBB2_434
; %bb.422:                              ;   in Loop: Header=BB2_393 Depth=4
	s_mov_b64 s[78:79], exec
	v_mbcnt_lo_u32_b32 v9, s78, 0
	v_mbcnt_hi_u32_b32 v9, s79, v9
	v_cmp_eq_u32_e32 vcc, 0, v9
	s_waitcnt vmcnt(0) lgkmcnt(0)
	buffer_wbinvl1_vol
	s_and_saveexec_b64 s[76:77], vcc
	s_cbranch_execz .LBB2_424
; %bb.423:                              ;   in Loop: Header=BB2_393 Depth=4
	s_bcnt1_i32_b64 s78, s[78:79]
	v_mov_b32_e32 v27, s78
	v_mov_b32_e32 v28, v32
	ds_add_u64 v0, v[27:28]
	s_trap 2
.LBB2_424:                              ;   in Loop: Header=BB2_393 Depth=4
	s_or_b64 exec, exec, s[76:77]
	s_trap 2
	ds_read_b64 v[27:28], v0
	s_waitcnt lgkmcnt(0)
	v_add_co_u32_e32 v10, vcc, v10, v31
	v_addc_co_u32_e32 v11, vcc, 0, v11, vcc
	v_cmp_lt_u64_e32 vcc, v[27:28], v[10:11]
	s_and_saveexec_b64 s[76:77], vcc
	s_cbranch_execz .LBB2_433
; %bb.425:                              ;   in Loop: Header=BB2_393 Depth=4
	s_mov_b32 s30, 0
	s_mov_b64 s[78:79], 0
                                        ; implicit-def: $sgpr88_sgpr89
                                        ; implicit-def: $sgpr90_sgpr91
	s_branch .LBB2_427
.LBB2_426:                              ;   in Loop: Header=BB2_427 Depth=5
	s_or_b64 exec, exec, s[94:95]
	s_and_b64 s[92:93], exec, vcc
	s_or_b64 s[78:79], s[92:93], s[78:79]
	s_andn2_b64 s[88:89], s[88:89], exec
	s_and_b64 s[92:93], s[90:91], exec
	s_or_b64 s[88:89], s[88:89], s[92:93]
	s_andn2_b64 exec, exec, s[78:79]
	s_cbranch_execz .LBB2_431
.LBB2_427:                              ;   Parent Loop BB2_53 Depth=1
                                        ;     Parent Loop BB2_89 Depth=2
                                        ;       Parent Loop BB2_265 Depth=3
                                        ;         Parent Loop BB2_393 Depth=4
                                        ; =>        This Inner Loop Header: Depth=5
	s_add_i32 s30, s30, 1
	s_cmpk_lg_i32 s30, 0x2710
	s_cselect_b64 s[92:93], -1, 0
	s_and_b64 vcc, exec, s[92:93]
	s_cbranch_vccz .LBB2_429
; %bb.428:                              ;   in Loop: Header=BB2_427 Depth=5
	s_mov_b64 vcc, -1
	s_or_b64 s[90:91], s[90:91], exec
	s_and_saveexec_b64 s[94:95], s[92:93]
	s_cbranch_execz .LBB2_426
	s_branch .LBB2_430
.LBB2_429:                              ;   in Loop: Header=BB2_427 Depth=5
	s_trap 2
	ds_read_b64 v[27:28], v0
	s_andn2_b64 s[92:93], s[92:93], exec
	s_mov_b32 s30, 0
	s_waitcnt lgkmcnt(0)
	flat_load_dword v9, v[27:28] glc
	s_waitcnt vmcnt(0) lgkmcnt(0)
	buffer_wbinvl1_vol
	v_cmp_eq_u32_e32 vcc, 0, v9
	s_and_b64 s[94:95], vcc, exec
	s_or_b64 s[92:93], s[92:93], s[94:95]
	s_mov_b64 vcc, -1
	s_or_b64 s[90:91], s[90:91], exec
	s_and_saveexec_b64 s[94:95], s[92:93]
	s_cbranch_execz .LBB2_426
.LBB2_430:                              ;   in Loop: Header=BB2_427 Depth=5
	s_sleep 1
	s_trap 2
	ds_read_b64 v[27:28], v0
	s_waitcnt lgkmcnt(0)
	s_andn2_b64 s[90:91], s[90:91], exec
	v_cmp_ge_u64_e32 vcc, v[27:28], v[10:11]
	s_orn2_b64 vcc, vcc, exec
	s_branch .LBB2_426
.LBB2_431:                              ;   in Loop: Header=BB2_393 Depth=4
	s_or_b64 exec, exec, s[78:79]
	s_and_saveexec_b64 s[78:79], s[88:89]
	s_xor_b64 s[78:79], exec, s[78:79]
	s_cbranch_execz .LBB2_433
; %bb.432:                              ;   in Loop: Header=BB2_393 Depth=4
	ds_write_b32 v0, v1
	s_trap 2
.LBB2_433:                              ;   in Loop: Header=BB2_393 Depth=4
	s_or_b64 exec, exec, s[76:77]
	;;#ASMSTART
	s_wakeup
	;;#ASMEND
.LBB2_434:                              ;   in Loop: Header=BB2_393 Depth=4
	s_or_b64 exec, exec, s[74:75]
.LBB2_435:                              ;   in Loop: Header=BB2_393 Depth=4
	s_andn2_saveexec_b64 s[72:73], s[72:73]
	s_cbranch_execz .LBB2_437
; %bb.436:                              ;   in Loop: Header=BB2_393 Depth=4
	s_waitcnt vmcnt(0) lgkmcnt(0)
	buffer_wbinvl1_vol
	s_barrier
.LBB2_437:                              ;   in Loop: Header=BB2_393 Depth=4
	s_or_b64 exec, exec, s[72:73]
.LBB2_438:                              ;   in Loop: Header=BB2_393 Depth=4
	s_or_b64 exec, exec, s[22:23]
	s_trap 2
	ds_read_b32 v9, v0
	v_cmp_lt_i32_e32 vcc, 0, v8
	s_waitcnt lgkmcnt(0)
	v_readfirstlane_b32 s22, v9
	s_cmp_eq_u32 s22, 0
	s_cselect_b64 s[22:23], -1, 0
	v_and_b32_e32 v9, 16, v48
	s_and_b64 s[22:23], vcc, s[22:23]
	v_cmp_ne_u32_e32 vcc, 0, v9
	s_and_b64 s[72:73], vcc, s[22:23]
	s_and_saveexec_b64 s[22:23], s[72:73]
	s_cbranch_execz .LBB2_440
; %bb.439:                              ;   in Loop: Header=BB2_393 Depth=4
	s_waitcnt vmcnt(0)
	buffer_wbinvl1_vol
.LBB2_440:                              ;   in Loop: Header=BB2_393 Depth=4
	s_or_b64 exec, exec, s[22:23]
	v_cmp_ne_u32_e32 vcc, 0, v9
	s_xor_b64 s[22:23], s[18:19], -1
	s_and_b64 s[72:73], vcc, s[22:23]
	s_and_saveexec_b64 s[22:23], s[72:73]
	s_cbranch_execz .LBB2_442
; %bb.441:                              ;   in Loop: Header=BB2_393 Depth=4
	flat_store_dword v[20:21], v1
.LBB2_442:                              ;   in Loop: Header=BB2_393 Depth=4
	s_or_b64 exec, exec, s[22:23]
	v_and_b32_e32 v9, 48, v48
	v_cmp_ne_u32_e32 vcc, 0, v9
	s_and_saveexec_b64 s[22:23], vcc
	s_cbranch_execz .LBB2_392
; %bb.443:                              ;   in Loop: Header=BB2_393 Depth=4
	v_add_co_u32_e32 v50, vcc, 2, v50
	v_addc_co_u32_e32 v51, vcc, 0, v51, vcc
	flat_store_dwordx2 v[16:17], v[50:51]
	s_branch .LBB2_392
.LBB2_444:                              ;   in Loop: Header=BB2_89 Depth=2
	buffer_load_dword v8, off, s[0:3], s33 offset:72 ; 4-byte Folded Reload
	v_mov_b32_e32 v42, 0
	s_waitcnt vmcnt(0)
	v_add_co_u32_e32 v43, vcc, v6, v8
	buffer_load_dword v8, off, s[0:3], s33 offset:84 ; 4-byte Folded Reload
	v_max_i32_e32 v25, 0, v43
	v_add_u32_e32 v9, 31, v25
	v_lshrrev_b32_e32 v9, 1, v9
	v_and_b32_e32 v9, 0x3ffffff0, v9
	v_max_i32_e32 v33, s51, v9
	s_waitcnt vmcnt(0)
	v_addc_co_u32_e32 v44, vcc, v7, v8, vcc
	v_cmp_lt_i32_e32 vcc, 0, v43
	v_mov_b32_e32 v8, 0
	s_and_b64 s[22:23], s[40:41], vcc
	s_and_saveexec_b64 s[58:59], s[22:23]
	s_cbranch_execz .LBB2_563
; %bb.445:                              ;   in Loop: Header=BB2_89 Depth=2
	s_mov_b32 s38, 1
	s_mov_b64 s[62:63], -1
	v_mov_b32_e32 v42, 0
	s_mov_b64 s[60:61], 0
	s_branch .LBB2_447
.LBB2_446:                              ;   in Loop: Header=BB2_447 Depth=3
	s_or_b64 exec, exec, s[22:23]
	v_add_u32_e32 v42, v33, v42
	v_cmp_ge_i32_e32 vcc, v42, v25
	s_xor_b64 s[22:23], s[62:63], -1
	s_or_b64 s[22:23], s[22:23], vcc
	s_and_b64 s[22:23], exec, s[22:23]
	s_or_b64 s[60:61], s[22:23], s[60:61]
	s_mov_b64 s[62:63], 0
	v_mov_b32_e32 v8, s38
	s_mov_b32 s38, 2
	s_andn2_b64 exec, exec, s[60:61]
	s_cbranch_execz .LBB2_562
.LBB2_447:                              ;   Parent Loop BB2_53 Depth=1
                                        ;     Parent Loop BB2_89 Depth=2
                                        ; =>    This Loop Header: Depth=3
                                        ;         Child Loop BB2_455 Depth 4
                                        ;         Child Loop BB2_479 Depth 4
	;; [unrolled: 1-line block ×8, first 2 shown]
	s_and_saveexec_b64 s[22:23], s[4:5]
	s_cbranch_execz .LBB2_449
; %bb.448:                              ;   in Loop: Header=BB2_447 Depth=3
	s_trap 2
	ds_read_b128 v[54:57], v0
	v_ashrrev_i32_e32 v24, 31, v42
	s_waitcnt lgkmcnt(0)
	v_add_co_u32_e32 v8, vcc, v54, v43
	v_addc_co_u32_e32 v9, vcc, v55, v44, vcc
	v_add_co_u32_e32 v8, vcc, v8, v42
	v_addc_co_u32_e32 v9, vcc, v9, v24, vcc
	ds_write_b64 v0, v[8:9]
	v_add_co_u32_e32 v8, vcc, v56, v43
	v_addc_co_u32_e32 v9, vcc, v57, v44, vcc
	v_add_co_u32_e32 v8, vcc, v8, v42
	v_addc_co_u32_e32 v9, vcc, v9, v24, vcc
	v_cmp_ne_u64_e32 vcc, 0, v[56:57]
	v_cndmask_b32_e32 v9, 0, v9, vcc
	v_cndmask_b32_e32 v8, 0, v8, vcc
	ds_write_b64 v0, v[8:9]
.LBB2_449:                              ;   in Loop: Header=BB2_447 Depth=3
	s_or_b64 exec, exec, s[22:23]
	v_and_b32_e32 v8, 4, v48
	v_cmp_ne_u32_e32 vcc, 0, v8
	s_and_saveexec_b64 s[72:73], vcc
	s_cbranch_execz .LBB2_471
; %bb.450:                              ;   in Loop: Header=BB2_447 Depth=3
	v_add_co_u32_e32 v8, vcc, 2, v50
	v_addc_co_u32_e32 v9, vcc, 0, v51, vcc
	s_waitcnt vmcnt(0)
	v_cmp_lt_u64_e32 vcc, v[22:23], v[8:9]
	s_and_saveexec_b64 s[74:75], vcc
	s_cbranch_execz .LBB2_462
; %bb.451:                              ;   in Loop: Header=BB2_447 Depth=3
	v_and_b32_e32 v22, 64, v48
	s_mov_b32 s39, 0
	v_cmp_eq_u32_e32 vcc, 0, v22
	s_mov_b64 s[76:77], 0
                                        ; implicit-def: $sgpr78_sgpr79
                                        ; implicit-def: $sgpr88_sgpr89
                                        ; implicit-def: $sgpr90_sgpr91
	s_branch .LBB2_455
.LBB2_452:                              ;   in Loop: Header=BB2_455 Depth=4
	s_waitcnt vmcnt(0) lgkmcnt(0)
	v_cmp_ge_u64_e64 s[22:23], v[22:23], v[8:9]
	s_or_b64 s[30:31], s[30:31], exec
	s_orn2_b64 s[94:95], s[22:23], exec
.LBB2_453:                              ;   in Loop: Header=BB2_455 Depth=4
	s_or_b64 exec, exec, s[36:37]
	s_andn2_b64 s[22:23], s[90:91], exec
	s_and_b64 s[90:91], s[30:31], exec
	s_or_b64 s[90:91], s[22:23], s[90:91]
	s_andn2_b64 s[22:23], s[88:89], exec
	s_and_b64 s[88:89], s[94:95], exec
	s_or_b64 s[88:89], s[22:23], s[88:89]
.LBB2_454:                              ;   in Loop: Header=BB2_455 Depth=4
	s_or_b64 exec, exec, s[92:93]
	s_and_b64 s[22:23], exec, s[88:89]
	s_or_b64 s[76:77], s[22:23], s[76:77]
	s_andn2_b64 s[22:23], s[78:79], exec
	s_and_b64 s[78:79], s[90:91], exec
	s_or_b64 s[78:79], s[22:23], s[78:79]
	s_andn2_b64 exec, exec, s[76:77]
	s_cbranch_execz .LBB2_459
.LBB2_455:                              ;   Parent Loop BB2_53 Depth=1
                                        ;     Parent Loop BB2_89 Depth=2
                                        ;       Parent Loop BB2_447 Depth=3
                                        ; =>      This Inner Loop Header: Depth=4
	s_sleep 1
	s_waitcnt vmcnt(0) lgkmcnt(0)
	flat_load_dwordx2 v[22:23], v[16:17] glc
	s_or_b64 s[90:91], s[90:91], exec
	s_or_b64 s[88:89], s[88:89], exec
                                        ; implicit-def: $vgpr51
	s_and_saveexec_b64 s[92:93], vcc
	s_cbranch_execz .LBB2_454
; %bb.456:                              ;   in Loop: Header=BB2_455 Depth=4
	s_cmpk_lt_i32 s39, 0x270f
	s_cselect_b64 s[34:35], -1, 0
	s_cmpk_gt_i32 s39, 0x270e
	s_mov_b64 s[94:95], -1
	s_cbranch_scc0 .LBB2_458
; %bb.457:                              ;   in Loop: Header=BB2_455 Depth=4
	s_trap 2
	ds_read_b64 v[27:28], v0
	s_andn2_b64 s[34:35], s[34:35], exec
	s_mov_b32 s39, 0
	s_mov_b64 s[30:31], 0
	s_waitcnt vmcnt(0) lgkmcnt(0)
	flat_load_dword v51, v[27:28] glc
	s_waitcnt vmcnt(0) lgkmcnt(0)
	buffer_wbinvl1_vol
	v_cmp_eq_u32_e64 s[22:23], 0, v51
	s_and_b64 s[22:23], s[22:23], exec
	s_or_b64 s[34:35], s[34:35], s[22:23]
	s_and_saveexec_b64 s[36:37], s[34:35]
	s_cbranch_execz .LBB2_453
	s_branch .LBB2_452
.LBB2_458:                              ;   in Loop: Header=BB2_455 Depth=4
	s_add_i32 s39, s39, 1
	s_mov_b64 s[30:31], -1
                                        ; implicit-def: $vgpr51
	s_and_saveexec_b64 s[36:37], s[34:35]
	s_cbranch_execz .LBB2_453
	s_branch .LBB2_452
.LBB2_459:                              ;   in Loop: Header=BB2_447 Depth=3
	s_or_b64 exec, exec, s[76:77]
	s_xor_b64 s[22:23], s[78:79], -1
	s_and_saveexec_b64 s[76:77], s[22:23]
	s_xor_b64 s[22:23], exec, s[76:77]
	s_cbranch_execz .LBB2_461
; %bb.460:                              ;   in Loop: Header=BB2_447 Depth=3
	v_or_b32_e32 v48, 64, v48
	s_waitcnt lgkmcnt(0)
	ds_write_b32 v0, v51
	s_trap 2
.LBB2_461:                              ;   in Loop: Header=BB2_447 Depth=3
	s_or_b64 exec, exec, s[22:23]
.LBB2_462:                              ;   in Loop: Header=BB2_447 Depth=3
	s_or_b64 exec, exec, s[74:75]
	v_and_b32_e32 v24, 0x100, v48
	v_cmp_ne_u32_e32 vcc, 0, v24
	v_and_b32_e32 v24, 7, v50
	s_mov_b64 s[22:23], -1
	;;#ASMSTART
	s_wakeup
	;;#ASMEND
                                        ; implicit-def: $vgpr50_vgpr51
	s_and_saveexec_b64 s[74:75], vcc
	s_cbranch_execz .LBB2_466
; %bb.463:                              ;   in Loop: Header=BB2_447 Depth=3
	v_mad_u64_u32 v[54:55], s[22:23], v24, 24, v[4:5]
                                        ; implicit-def: $vgpr50_vgpr51
	flat_load_dword v27, v[54:55]
	s_waitcnt vmcnt(0) lgkmcnt(0)
	v_cmp_ne_u32_e32 vcc, 1, v27
	v_cmp_eq_u32_e64 s[22:23], 1, v27
	s_and_saveexec_b64 s[76:77], s[22:23]
	s_cbranch_execz .LBB2_465
; %bb.464:                              ;   in Loop: Header=BB2_447 Depth=3
	flat_load_dword v50, v[54:55] offset:4 glc
	s_waitcnt vmcnt(0) lgkmcnt(0)
	v_ashrrev_i32_e32 v51, 31, v50
.LBB2_465:                              ;   in Loop: Header=BB2_447 Depth=3
	s_or_b64 exec, exec, s[76:77]
	s_orn2_b64 s[22:23], vcc, exec
.LBB2_466:                              ;   in Loop: Header=BB2_447 Depth=3
	s_or_b64 exec, exec, s[74:75]
	s_and_saveexec_b64 s[74:75], s[22:23]
; %bb.467:                              ;   in Loop: Header=BB2_447 Depth=3
	v_mad_i64_i32 v[50:51], s[22:23], v24, v49, 0
; %bb.468:                              ;   in Loop: Header=BB2_447 Depth=3
	s_or_b64 exec, exec, s[74:75]
	v_add_co_u32_e32 v27, vcc, v18, v50
	v_addc_co_u32_e32 v28, vcc, v19, v51, vcc
	v_and_b32_e32 v24, 0x2000, v48
	v_cmp_ne_u32_e32 vcc, 0, v24
	ds_write_b64 v0, v[27:28] offset:720
	s_and_saveexec_b64 s[22:23], vcc
	s_cbranch_execz .LBB2_470
; %bb.469:                              ;   in Loop: Header=BB2_447 Depth=3
	ds_read_b64 v[27:28], v0 offset:872
	s_waitcnt lgkmcnt(0)
	v_add_co_u32_e32 v27, vcc, 1, v27
	v_addc_co_u32_e32 v28, vcc, 0, v28, vcc
	ds_write_b64 v0, v[27:28] offset:872
.LBB2_470:                              ;   in Loop: Header=BB2_447 Depth=3
	s_or_b64 exec, exec, s[22:23]
	v_mov_b32_e32 v51, v9
	v_mov_b32_e32 v50, v8
.LBB2_471:                              ;   in Loop: Header=BB2_447 Depth=3
	s_or_b64 exec, exec, s[72:73]
	s_and_saveexec_b64 s[22:23], s[6:7]
	s_cbranch_execz .LBB2_490
; %bb.472:                              ;   in Loop: Header=BB2_447 Depth=3
	s_and_saveexec_b64 s[72:73], s[28:29]
	s_xor_b64 s[72:73], exec, s[72:73]
	s_cbranch_execz .LBB2_487
; %bb.473:                              ;   in Loop: Header=BB2_447 Depth=3
	s_and_saveexec_b64 s[74:75], s[12:13]
	s_cbranch_execz .LBB2_486
; %bb.474:                              ;   in Loop: Header=BB2_447 Depth=3
	s_mov_b64 s[78:79], exec
	v_mbcnt_lo_u32_b32 v8, s78, 0
	v_mbcnt_hi_u32_b32 v8, s79, v8
	v_cmp_eq_u32_e32 vcc, 0, v8
	s_waitcnt vmcnt(0) lgkmcnt(0)
	buffer_wbinvl1_vol
	s_and_saveexec_b64 s[76:77], vcc
	s_cbranch_execz .LBB2_476
; %bb.475:                              ;   in Loop: Header=BB2_447 Depth=3
	s_bcnt1_i32_b64 s78, s[78:79]
	v_mov_b32_e32 v8, s78
	v_mov_b32_e32 v9, v32
	ds_add_u64 v0, v[8:9]
	s_trap 2
.LBB2_476:                              ;   in Loop: Header=BB2_447 Depth=3
	s_or_b64 exec, exec, s[76:77]
	s_trap 2
	ds_read_b64 v[8:9], v0
	s_waitcnt lgkmcnt(0)
	v_add_co_u32_e32 v10, vcc, v10, v31
	v_addc_co_u32_e32 v11, vcc, 0, v11, vcc
	v_cmp_lt_u64_e32 vcc, v[8:9], v[10:11]
	s_and_saveexec_b64 s[76:77], vcc
	s_cbranch_execz .LBB2_485
; %bb.477:                              ;   in Loop: Header=BB2_447 Depth=3
	s_mov_b32 s30, 0
	s_mov_b64 s[78:79], 0
                                        ; implicit-def: $sgpr88_sgpr89
                                        ; implicit-def: $sgpr90_sgpr91
	s_branch .LBB2_479
.LBB2_478:                              ;   in Loop: Header=BB2_479 Depth=4
	s_or_b64 exec, exec, s[94:95]
	s_and_b64 s[92:93], exec, vcc
	s_or_b64 s[78:79], s[92:93], s[78:79]
	s_andn2_b64 s[88:89], s[88:89], exec
	s_and_b64 s[92:93], s[90:91], exec
	s_or_b64 s[88:89], s[88:89], s[92:93]
	s_andn2_b64 exec, exec, s[78:79]
	s_cbranch_execz .LBB2_483
.LBB2_479:                              ;   Parent Loop BB2_53 Depth=1
                                        ;     Parent Loop BB2_89 Depth=2
                                        ;       Parent Loop BB2_447 Depth=3
                                        ; =>      This Inner Loop Header: Depth=4
	s_add_i32 s30, s30, 1
	s_cmpk_lg_i32 s30, 0x2710
	s_cselect_b64 s[92:93], -1, 0
	s_and_b64 vcc, exec, s[92:93]
	s_cbranch_vccz .LBB2_481
; %bb.480:                              ;   in Loop: Header=BB2_479 Depth=4
	s_mov_b64 vcc, -1
	s_or_b64 s[90:91], s[90:91], exec
	s_and_saveexec_b64 s[94:95], s[92:93]
	s_cbranch_execz .LBB2_478
	s_branch .LBB2_482
.LBB2_481:                              ;   in Loop: Header=BB2_479 Depth=4
	s_trap 2
	ds_read_b64 v[8:9], v0
	s_andn2_b64 s[92:93], s[92:93], exec
	s_mov_b32 s30, 0
	s_waitcnt lgkmcnt(0)
	flat_load_dword v8, v[8:9] glc
	s_waitcnt vmcnt(0) lgkmcnt(0)
	buffer_wbinvl1_vol
	v_cmp_eq_u32_e32 vcc, 0, v8
	s_and_b64 s[94:95], vcc, exec
	s_or_b64 s[92:93], s[92:93], s[94:95]
	s_mov_b64 vcc, -1
	s_or_b64 s[90:91], s[90:91], exec
	s_and_saveexec_b64 s[94:95], s[92:93]
	s_cbranch_execz .LBB2_478
.LBB2_482:                              ;   in Loop: Header=BB2_479 Depth=4
	s_sleep 1
	s_trap 2
	ds_read_b64 v[8:9], v0
	s_waitcnt lgkmcnt(0)
	s_andn2_b64 s[90:91], s[90:91], exec
	v_cmp_ge_u64_e32 vcc, v[8:9], v[10:11]
	s_orn2_b64 vcc, vcc, exec
	s_branch .LBB2_478
.LBB2_483:                              ;   in Loop: Header=BB2_447 Depth=3
	s_or_b64 exec, exec, s[78:79]
	s_and_saveexec_b64 s[78:79], s[88:89]
	s_xor_b64 s[78:79], exec, s[78:79]
	s_cbranch_execz .LBB2_485
; %bb.484:                              ;   in Loop: Header=BB2_447 Depth=3
	ds_write_b32 v0, v1
	s_trap 2
.LBB2_485:                              ;   in Loop: Header=BB2_447 Depth=3
	s_or_b64 exec, exec, s[76:77]
	;;#ASMSTART
	s_wakeup
	;;#ASMEND
.LBB2_486:                              ;   in Loop: Header=BB2_447 Depth=3
	s_or_b64 exec, exec, s[74:75]
.LBB2_487:                              ;   in Loop: Header=BB2_447 Depth=3
	s_andn2_saveexec_b64 s[72:73], s[72:73]
	s_cbranch_execz .LBB2_489
; %bb.488:                              ;   in Loop: Header=BB2_447 Depth=3
	s_waitcnt vmcnt(0) lgkmcnt(0)
	buffer_wbinvl1_vol
	s_barrier
.LBB2_489:                              ;   in Loop: Header=BB2_447 Depth=3
	s_or_b64 exec, exec, s[72:73]
.LBB2_490:                              ;   in Loop: Header=BB2_447 Depth=3
	s_or_b64 exec, exec, s[22:23]
	s_trap 2
	ds_read_b32 v40, v0
	v_and_b32_e32 v8, 0x4000, v48
	v_cmp_ne_u32_e32 vcc, 0, v8
	s_xor_b64 s[22:23], s[16:17], -1
	s_and_b64 s[72:73], s[22:23], vcc
	s_and_saveexec_b64 s[22:23], s[72:73]
	s_cbranch_execz .LBB2_509
; %bb.491:                              ;   in Loop: Header=BB2_447 Depth=3
	s_and_saveexec_b64 s[72:73], s[28:29]
	s_xor_b64 s[72:73], exec, s[72:73]
	s_cbranch_execz .LBB2_506
; %bb.492:                              ;   in Loop: Header=BB2_447 Depth=3
	s_and_saveexec_b64 s[74:75], s[12:13]
	s_cbranch_execz .LBB2_505
; %bb.493:                              ;   in Loop: Header=BB2_447 Depth=3
	s_mov_b64 s[78:79], exec
	v_mbcnt_lo_u32_b32 v8, s78, 0
	v_mbcnt_hi_u32_b32 v8, s79, v8
	v_cmp_eq_u32_e32 vcc, 0, v8
	s_waitcnt vmcnt(0) lgkmcnt(0)
	buffer_wbinvl1_vol
	s_and_saveexec_b64 s[76:77], vcc
	s_cbranch_execz .LBB2_495
; %bb.494:                              ;   in Loop: Header=BB2_447 Depth=3
	s_bcnt1_i32_b64 s78, s[78:79]
	v_mov_b32_e32 v8, s78
	v_mov_b32_e32 v9, v32
	ds_add_u64 v0, v[8:9]
	s_trap 2
.LBB2_495:                              ;   in Loop: Header=BB2_447 Depth=3
	s_or_b64 exec, exec, s[76:77]
	s_trap 2
	ds_read_b64 v[8:9], v0
	s_waitcnt lgkmcnt(0)
	v_add_co_u32_e32 v10, vcc, v10, v31
	v_addc_co_u32_e32 v11, vcc, 0, v11, vcc
	v_cmp_lt_u64_e32 vcc, v[8:9], v[10:11]
	s_and_saveexec_b64 s[76:77], vcc
	s_cbranch_execz .LBB2_504
; %bb.496:                              ;   in Loop: Header=BB2_447 Depth=3
	s_mov_b32 s30, 0
	s_mov_b64 s[78:79], 0
                                        ; implicit-def: $sgpr88_sgpr89
                                        ; implicit-def: $sgpr90_sgpr91
	s_branch .LBB2_498
.LBB2_497:                              ;   in Loop: Header=BB2_498 Depth=4
	s_or_b64 exec, exec, s[94:95]
	s_and_b64 s[92:93], exec, vcc
	s_or_b64 s[78:79], s[92:93], s[78:79]
	s_andn2_b64 s[88:89], s[88:89], exec
	s_and_b64 s[92:93], s[90:91], exec
	s_or_b64 s[88:89], s[88:89], s[92:93]
	s_andn2_b64 exec, exec, s[78:79]
	s_cbranch_execz .LBB2_502
.LBB2_498:                              ;   Parent Loop BB2_53 Depth=1
                                        ;     Parent Loop BB2_89 Depth=2
                                        ;       Parent Loop BB2_447 Depth=3
                                        ; =>      This Inner Loop Header: Depth=4
	s_add_i32 s30, s30, 1
	s_cmpk_lg_i32 s30, 0x2710
	s_cselect_b64 s[92:93], -1, 0
	s_and_b64 vcc, exec, s[92:93]
	s_cbranch_vccz .LBB2_500
; %bb.499:                              ;   in Loop: Header=BB2_498 Depth=4
	s_mov_b64 vcc, -1
	s_or_b64 s[90:91], s[90:91], exec
	s_and_saveexec_b64 s[94:95], s[92:93]
	s_cbranch_execz .LBB2_497
	s_branch .LBB2_501
.LBB2_500:                              ;   in Loop: Header=BB2_498 Depth=4
	s_trap 2
	ds_read_b64 v[8:9], v0
	s_andn2_b64 s[92:93], s[92:93], exec
	s_mov_b32 s30, 0
	s_waitcnt lgkmcnt(0)
	flat_load_dword v8, v[8:9] glc
	s_waitcnt vmcnt(0) lgkmcnt(0)
	buffer_wbinvl1_vol
	v_cmp_eq_u32_e32 vcc, 0, v8
	s_and_b64 s[94:95], vcc, exec
	s_or_b64 s[92:93], s[92:93], s[94:95]
	s_mov_b64 vcc, -1
	s_or_b64 s[90:91], s[90:91], exec
	s_and_saveexec_b64 s[94:95], s[92:93]
	s_cbranch_execz .LBB2_497
.LBB2_501:                              ;   in Loop: Header=BB2_498 Depth=4
	s_sleep 1
	s_trap 2
	ds_read_b64 v[8:9], v0
	s_waitcnt lgkmcnt(0)
	s_andn2_b64 s[90:91], s[90:91], exec
	v_cmp_ge_u64_e32 vcc, v[8:9], v[10:11]
	s_orn2_b64 vcc, vcc, exec
	s_branch .LBB2_497
.LBB2_502:                              ;   in Loop: Header=BB2_447 Depth=3
	s_or_b64 exec, exec, s[78:79]
	s_and_saveexec_b64 s[78:79], s[88:89]
	s_xor_b64 s[78:79], exec, s[78:79]
	s_cbranch_execz .LBB2_504
; %bb.503:                              ;   in Loop: Header=BB2_447 Depth=3
	ds_write_b32 v0, v1
	s_trap 2
.LBB2_504:                              ;   in Loop: Header=BB2_447 Depth=3
	s_or_b64 exec, exec, s[76:77]
	;;#ASMSTART
	s_wakeup
	;;#ASMEND
.LBB2_505:                              ;   in Loop: Header=BB2_447 Depth=3
	s_or_b64 exec, exec, s[74:75]
.LBB2_506:                              ;   in Loop: Header=BB2_447 Depth=3
	s_andn2_saveexec_b64 s[72:73], s[72:73]
	s_cbranch_execz .LBB2_508
; %bb.507:                              ;   in Loop: Header=BB2_447 Depth=3
	s_waitcnt vmcnt(0) lgkmcnt(0)
	buffer_wbinvl1_vol
	s_barrier
.LBB2_508:                              ;   in Loop: Header=BB2_447 Depth=3
	s_or_b64 exec, exec, s[72:73]
.LBB2_509:                              ;   in Loop: Header=BB2_447 Depth=3
	s_or_b64 exec, exec, s[22:23]
	v_sub_u32_e32 v8, v25, v42
	v_min_i32_e32 v33, v33, v8
	s_trap 2
	ds_read_b64 v[8:9], v0
	s_waitcnt lgkmcnt(0)
	v_cmp_eq_u64_e32 vcc, 0, v[8:9]
	s_cbranch_vccnz .LBB2_517
; %bb.510:                              ;   in Loop: Header=BB2_447 Depth=3
	s_trap 2
	ds_read_b64 v[54:55], v0
	s_waitcnt lgkmcnt(0)
	v_cmp_eq_u64_e32 vcc, 0, v[54:55]
	s_cbranch_vccnz .LBB2_517
; %bb.511:                              ;   in Loop: Header=BB2_447 Depth=3
	s_mov_b64 s[22:23], -1
	s_and_saveexec_b64 s[72:73], s[14:15]
	s_cbranch_execz .LBB2_513
; %bb.512:                              ;   in Loop: Header=BB2_447 Depth=3
	ds_read_b32 v24, v0 offset:720
	s_waitcnt lgkmcnt(0)
	v_and_b32_e32 v24, 15, v24
	v_cmp_eq_u32_e32 vcc, 0, v24
	s_orn2_b64 s[22:23], vcc, exec
.LBB2_513:                              ;   in Loop: Header=BB2_447 Depth=3
	s_or_b64 exec, exec, s[72:73]
	s_and_saveexec_b64 s[72:73], s[10:11]
	s_cbranch_execz .LBB2_515
; %bb.514:                              ;   in Loop: Header=BB2_447 Depth=3
	ds_read_b32 v24, v0 offset:784
	s_waitcnt lgkmcnt(0)
	v_and_b32_e32 v24, 15, v24
	v_cmp_eq_u32_e32 vcc, 0, v24
	s_and_b64 s[74:75], s[22:23], vcc
	s_andn2_b64 s[22:23], s[22:23], exec
	s_and_b64 s[74:75], s[74:75], exec
	s_or_b64 s[22:23], s[22:23], s[74:75]
.LBB2_515:                              ;   in Loop: Header=BB2_447 Depth=3
	s_or_b64 exec, exec, s[72:73]
	v_cmp_eq_u32_e32 vcc, 0, v40
	s_xor_b64 s[22:23], s[22:23], -1
	v_cndmask_b32_e32 v45, 0, v33, vcc
	v_cndmask_b32_e64 v24, 0, 1, s[22:23]
	s_mov_b64 s[74:75], -1
	v_cmp_ne_u32_e32 vcc, 0, v24
	v_mov_b32_e32 v40, 0
	v_mov_b32_e32 v41, v45
	;; [unrolled: 1-line block ×4, first 2 shown]
	s_cbranch_vccz .LBB2_518
; %bb.516:                              ;   in Loop: Header=BB2_447 Depth=3
	s_and_saveexec_b64 s[22:23], s[74:75]
	s_cbranch_execnz .LBB2_531
	s_branch .LBB2_539
.LBB2_517:                              ;   in Loop: Header=BB2_447 Depth=3
	s_mov_b64 s[22:23], 0
	s_and_saveexec_b64 s[72:73], s[6:7]
	s_cbranch_execnz .LBB2_540
	s_branch .LBB2_558
.LBB2_518:                              ;   in Loop: Header=BB2_447 Depth=3
	v_ashrrev_i32_e32 v24, 31, v45
	v_lshrrev_b32_e32 v24, 21, v24
	v_add_u32_e32 v24, v45, v24
	v_ashrrev_i32_e32 v46, 11, v24
	v_sub_u32_e32 v24, v46, v36
	v_cmp_lt_i32_e32 vcc, 0, v24
	s_and_saveexec_b64 s[22:23], vcc
	s_cbranch_execz .LBB2_522
; %bb.519:                              ;   in Loop: Header=BB2_447 Depth=3
	v_mov_b32_e32 v41, v39
	s_mov_b64 s[72:73], 0
	v_mov_b32_e32 v40, v38
.LBB2_520:                              ;   Parent Loop BB2_53 Depth=1
                                        ;     Parent Loop BB2_89 Depth=2
                                        ;       Parent Loop BB2_447 Depth=3
                                        ; =>      This Inner Loop Header: Depth=4
	v_add_co_u32_e32 v27, vcc, v8, v40
	v_addc_co_u32_e32 v28, vcc, v9, v41, vcc
	global_load_dwordx4 v[56:59], v[27:28], off glc slc
	s_nop 0
	global_load_dwordx4 v[27:30], v[27:28], off offset:1024 glc slc
	v_add_co_u32_e32 v60, vcc, v54, v40
	v_addc_co_u32_e32 v61, vcc, v55, v41, vcc
	v_add_co_u32_e32 v40, vcc, v40, v14
	v_sub_u32_e32 v24, v24, v31
	v_addc_co_u32_e32 v41, vcc, 0, v41, vcc
	v_cmp_gt_i32_e32 vcc, 1, v24
	s_or_b64 s[72:73], vcc, s[72:73]
	s_waitcnt vmcnt(0)
	global_store_dwordx4 v[60:61], v[56:59], off glc slc
	global_store_dwordx4 v[60:61], v[27:30], off offset:1024 glc slc
	s_andn2_b64 exec, exec, s[72:73]
	s_cbranch_execnz .LBB2_520
; %bb.521:                              ;   in Loop: Header=BB2_447 Depth=3
	s_or_b64 exec, exec, s[72:73]
.LBB2_522:                              ;   in Loop: Header=BB2_447 Depth=3
	s_or_b64 exec, exec, s[22:23]
	v_lshlrev_b32_e32 v47, 11, v46
	v_cmp_ne_u32_e32 vcc, v45, v47
	s_mov_b64 s[74:75], 0
	v_mov_b32_e32 v40, 0
                                        ; implicit-def: $vgpr41
                                        ; implicit-def: $vgpr46
                                        ; implicit-def: $vgpr56
	s_and_saveexec_b64 s[72:73], vcc
	s_cbranch_execz .LBB2_530
; %bb.523:                              ;   in Loop: Header=BB2_447 Depth=3
	v_lshlrev_b32_e32 v24, 6, v24
	v_sub_u32_e32 v24, v12, v24
	v_ashrrev_i32_e32 v28, 31, v24
	v_lshrrev_b32_e32 v28, 26, v28
	v_add_u32_e32 v28, v24, v28
	v_sub_u32_e32 v27, v45, v47
	v_ashrrev_i32_e32 v29, 6, v28
	v_and_b32_e32 v28, 0xffffffc0, v28
	v_sub_u32_e32 v57, v24, v28
	v_ashrrev_i32_e32 v28, 31, v27
	v_lshrrev_b32_e32 v28, 22, v28
	v_add_u32_e32 v28, v27, v28
	v_and_b32_e32 v58, 0xfffffc00, v28
	v_lshlrev_b32_e32 v24, 4, v57
	v_sub_u32_e32 v60, v27, v58
	v_lshl_add_u32 v40, v29, 10, v24
	v_ashrrev_i32_e32 v30, 10, v28
	v_cmp_lt_i32_e32 vcc, 15, v60
	v_sub_u32_e32 v24, v27, v40
	v_addc_co_u32_e64 v27, s[22:23], 0, v30, vcc
	v_sub_u32_e32 v59, v27, v29
	v_cmp_lt_i32_e64 s[22:23], 15, v24
	s_and_saveexec_b64 s[74:75], s[22:23]
	s_cbranch_execz .LBB2_527
; %bb.524:                              ;   in Loop: Header=BB2_447 Depth=3
	v_add_u32_e32 v40, v40, v47
	v_ashrrev_i32_e32 v41, 31, v40
	s_mov_b64 s[76:77], 0
.LBB2_525:                              ;   Parent Loop BB2_53 Depth=1
                                        ;     Parent Loop BB2_89 Depth=2
                                        ;       Parent Loop BB2_447 Depth=3
                                        ; =>      This Inner Loop Header: Depth=4
	v_add_co_u32_e64 v27, s[22:23], v8, v40
	v_addc_co_u32_e64 v28, s[22:23], v9, v41, s[22:23]
	global_load_dwordx4 v[27:30], v[27:28], off glc slc
	v_add_co_u32_e64 v61, s[22:23], v54, v40
	v_addc_co_u32_e64 v62, s[22:23], v55, v41, s[22:23]
	v_add_co_u32_e64 v40, s[22:23], v40, v15
	v_sub_u32_e32 v24, v24, v15
	v_addc_co_u32_e64 v41, s[22:23], 0, v41, s[22:23]
	v_cmp_gt_i32_e64 s[22:23], 16, v24
	v_sub_u32_e32 v59, v59, v31
	s_or_b64 s[76:77], s[22:23], s[76:77]
	s_waitcnt vmcnt(0)
	global_store_dwordx4 v[61:62], v[27:30], off glc slc
	s_andn2_b64 exec, exec, s[76:77]
	s_cbranch_execnz .LBB2_525
; %bb.526:                              ;   in Loop: Header=BB2_447 Depth=3
	s_or_b64 exec, exec, s[76:77]
.LBB2_527:                              ;   in Loop: Header=BB2_447 Depth=3
	s_or_b64 exec, exec, s[74:75]
	v_and_b32_e32 v24, 15, v45
	v_cndmask_b32_e32 v41, v60, v24, vcc
	v_mov_b32_e32 v40, 0
	v_cmp_ne_u32_e64 s[22:23], 0, v41
	s_mov_b64 s[76:77], 0
                                        ; implicit-def: $vgpr46
                                        ; implicit-def: $vgpr56
	s_and_saveexec_b64 s[74:75], s[22:23]
	s_cbranch_execz .LBB2_529
; %bb.528:                              ;   in Loop: Header=BB2_447 Depth=3
	v_sub_u32_e32 v24, v60, v24
	v_cndmask_b32_e32 v24, 0, v24, vcc
	v_cmp_lt_i32_e32 vcc, 0, v59
	v_add3_u32 v40, v58, v47, v24
	v_cndmask_b32_e32 v24, 0, v31, vcc
	v_sub_u32_e32 v24, v24, v59
	v_lshl_add_u32 v46, v24, 6, v57
	v_ashrrev_i32_e32 v24, 31, v46
	v_lshrrev_b32_e32 v24, 26, v24
	v_add_u32_e32 v24, v46, v24
	v_ashrrev_i32_e32 v56, 6, v24
	s_mov_b64 s[76:77], exec
.LBB2_529:                              ;   in Loop: Header=BB2_447 Depth=3
	s_or_b64 exec, exec, s[74:75]
	s_and_b64 s[74:75], s[76:77], exec
.LBB2_530:                              ;   in Loop: Header=BB2_447 Depth=3
	s_or_b64 exec, exec, s[72:73]
	s_and_saveexec_b64 s[22:23], s[74:75]
	s_cbranch_execz .LBB2_539
.LBB2_531:                              ;   in Loop: Header=BB2_447 Depth=3
	v_ashrrev_i32_e32 v24, 31, v41
	v_lshrrev_b32_e32 v24, 23, v24
	v_add_u32_e32 v24, v41, v24
	v_ashrrev_i32_e32 v58, 9, v24
	v_sub_u32_e32 v47, v58, v56
	v_ashrrev_i32_e32 v24, 31, v46
	v_cmp_lt_i32_e32 vcc, 0, v47
	v_lshrrev_b32_e32 v57, 26, v24
	s_and_saveexec_b64 s[72:73], vcc
	s_cbranch_execz .LBB2_535
; %bb.532:                              ;   in Loop: Header=BB2_447 Depth=3
	v_add_u32_e32 v24, v46, v57
	v_and_b32_e32 v24, 0xffffffc0, v24
	v_sub_u32_e32 v24, v46, v24
	v_lshlrev_b32_e32 v27, 9, v56
	v_add3_u32 v24, v40, v24, v27
	v_ashrrev_i32_e32 v56, 31, v24
	s_mov_b64 s[74:75], 0
.LBB2_533:                              ;   Parent Loop BB2_53 Depth=1
                                        ;     Parent Loop BB2_89 Depth=2
                                        ;       Parent Loop BB2_447 Depth=3
                                        ; =>      This Inner Loop Header: Depth=4
	v_add_co_u32_e32 v27, vcc, v24, v8
	v_addc_co_u32_e32 v28, vcc, v56, v9, vcc
	flat_load_ubyte v29, v[27:28] glc slc
	flat_load_ubyte v30, v[27:28] offset:64 glc slc
	flat_load_ubyte v53, v[27:28] offset:128 glc slc
	;; [unrolled: 1-line block ×7, first 2 shown]
	v_add_co_u32_e32 v27, vcc, v24, v54
	v_addc_co_u32_e32 v28, vcc, v56, v55, vcc
	v_add_co_u32_e32 v8, vcc, v8, v34
	v_addc_co_u32_e32 v9, vcc, 0, v9, vcc
	v_add_co_u32_e32 v54, vcc, v54, v34
	v_sub_u32_e32 v47, v47, v31
	v_addc_co_u32_e32 v55, vcc, 0, v55, vcc
	v_cmp_gt_i32_e32 vcc, 1, v47
	s_or_b64 s[74:75], vcc, s[74:75]
	s_waitcnt vmcnt(0) lgkmcnt(0)
	flat_store_byte v[27:28], v29 glc slc
	flat_store_byte v[27:28], v30 offset:64 glc slc
	flat_store_byte v[27:28], v53 offset:128 glc slc
	;; [unrolled: 1-line block ×7, first 2 shown]
	s_andn2_b64 exec, exec, s[74:75]
	s_cbranch_execnz .LBB2_533
; %bb.534:                              ;   in Loop: Header=BB2_447 Depth=3
	s_or_b64 exec, exec, s[74:75]
.LBB2_535:                              ;   in Loop: Header=BB2_447 Depth=3
	s_or_b64 exec, exec, s[72:73]
	v_lshlrev_b32_e32 v8, 9, v58
	v_cmp_ne_u32_e32 vcc, v41, v8
	s_and_b64 exec, exec, vcc
	s_cbranch_execz .LBB2_539
; %bb.536:                              ;   in Loop: Header=BB2_447 Depth=3
	v_add_u32_e32 v9, v46, v57
	v_and_b32_e32 v9, 0xffffffc0, v9
	v_sub_u32_e32 v9, v46, v9
	v_lshlrev_b32_e32 v13, 6, v47
	v_sub_u32_e32 v9, v9, v13
	v_add_u32_e32 v8, v8, v9
	v_sub_u32_e32 v24, v41, v8
	v_cmp_lt_i32_e32 vcc, 0, v24
	s_and_b64 exec, exec, vcc
	s_cbranch_execz .LBB2_539
; %bb.537:                              ;   in Loop: Header=BB2_447 Depth=3
	v_add_u32_e32 v54, v8, v40
	s_trap 2
	ds_read_b64 v[8:9], v0
	v_ashrrev_i32_e32 v55, 31, v54
	s_mov_b64 s[72:73], 0
.LBB2_538:                              ;   Parent Loop BB2_53 Depth=1
                                        ;     Parent Loop BB2_89 Depth=2
                                        ;       Parent Loop BB2_447 Depth=3
                                        ; =>      This Inner Loop Header: Depth=4
	s_waitcnt lgkmcnt(0)
	v_add_co_u32_e32 v27, vcc, v8, v54
	v_addc_co_u32_e32 v28, vcc, v9, v55, vcc
	flat_load_ubyte v13, v[27:28] glc slc
	v_add_co_u32_e32 v54, vcc, v54, v3
	v_sub_u32_e32 v24, v24, v3
	v_addc_co_u32_e32 v55, vcc, 0, v55, vcc
	v_cmp_gt_i32_e32 vcc, 1, v24
	s_or_b64 s[72:73], vcc, s[72:73]
	s_waitcnt vmcnt(0) lgkmcnt(0)
	flat_store_byte v[27:28], v13 glc slc
	s_andn2_b64 exec, exec, s[72:73]
	s_cbranch_execnz .LBB2_538
.LBB2_539:                              ;   in Loop: Header=BB2_447 Depth=3
	s_or_b64 exec, exec, s[22:23]
	v_cmp_lt_i32_e64 s[22:23], 0, v45
	s_and_saveexec_b64 s[72:73], s[6:7]
	s_cbranch_execz .LBB2_558
.LBB2_540:                              ;   in Loop: Header=BB2_447 Depth=3
	s_and_saveexec_b64 s[74:75], s[28:29]
	s_xor_b64 s[74:75], exec, s[74:75]
	s_cbranch_execz .LBB2_555
; %bb.541:                              ;   in Loop: Header=BB2_447 Depth=3
	s_and_saveexec_b64 s[76:77], s[12:13]
	s_cbranch_execz .LBB2_554
; %bb.542:                              ;   in Loop: Header=BB2_447 Depth=3
	s_mov_b64 s[88:89], exec
	v_mbcnt_lo_u32_b32 v8, s88, 0
	v_mbcnt_hi_u32_b32 v8, s89, v8
	v_cmp_eq_u32_e32 vcc, 0, v8
	s_waitcnt vmcnt(0) lgkmcnt(0)
	buffer_wbinvl1_vol
	s_and_saveexec_b64 s[78:79], vcc
	s_cbranch_execz .LBB2_544
; %bb.543:                              ;   in Loop: Header=BB2_447 Depth=3
	s_bcnt1_i32_b64 s88, s[88:89]
	v_mov_b32_e32 v8, s88
	v_mov_b32_e32 v9, v32
	ds_add_u64 v0, v[8:9]
	s_trap 2
.LBB2_544:                              ;   in Loop: Header=BB2_447 Depth=3
	s_or_b64 exec, exec, s[78:79]
	s_trap 2
	ds_read_b64 v[8:9], v0
	s_waitcnt lgkmcnt(0)
	v_add_co_u32_e32 v10, vcc, v10, v31
	v_addc_co_u32_e32 v11, vcc, 0, v11, vcc
	v_cmp_lt_u64_e32 vcc, v[8:9], v[10:11]
	s_and_saveexec_b64 s[78:79], vcc
	s_cbranch_execz .LBB2_553
; %bb.545:                              ;   in Loop: Header=BB2_447 Depth=3
	s_mov_b32 s34, 0
	s_mov_b64 s[88:89], 0
                                        ; implicit-def: $sgpr90_sgpr91
                                        ; implicit-def: $sgpr92_sgpr93
	s_branch .LBB2_547
.LBB2_546:                              ;   in Loop: Header=BB2_547 Depth=4
	s_or_b64 exec, exec, s[30:31]
	s_and_b64 s[94:95], exec, vcc
	s_or_b64 s[88:89], s[94:95], s[88:89]
	s_andn2_b64 s[90:91], s[90:91], exec
	s_and_b64 s[94:95], s[92:93], exec
	s_or_b64 s[90:91], s[90:91], s[94:95]
	s_andn2_b64 exec, exec, s[88:89]
	s_cbranch_execz .LBB2_551
.LBB2_547:                              ;   Parent Loop BB2_53 Depth=1
                                        ;     Parent Loop BB2_89 Depth=2
                                        ;       Parent Loop BB2_447 Depth=3
                                        ; =>      This Inner Loop Header: Depth=4
	s_add_i32 s34, s34, 1
	s_cmpk_lg_i32 s34, 0x2710
	s_cselect_b64 s[94:95], -1, 0
	s_and_b64 vcc, exec, s[94:95]
	s_cbranch_vccz .LBB2_549
; %bb.548:                              ;   in Loop: Header=BB2_547 Depth=4
	s_mov_b64 vcc, -1
	s_or_b64 s[92:93], s[92:93], exec
	s_and_saveexec_b64 s[30:31], s[94:95]
	s_cbranch_execz .LBB2_546
	s_branch .LBB2_550
.LBB2_549:                              ;   in Loop: Header=BB2_547 Depth=4
	s_trap 2
	ds_read_b64 v[8:9], v0
	s_andn2_b64 s[94:95], s[94:95], exec
	s_mov_b32 s34, 0
	s_waitcnt lgkmcnt(0)
	flat_load_dword v8, v[8:9] glc
	s_waitcnt vmcnt(0) lgkmcnt(0)
	buffer_wbinvl1_vol
	v_cmp_eq_u32_e32 vcc, 0, v8
	s_and_b64 vcc, vcc, exec
	s_or_b64 s[94:95], s[94:95], vcc
	s_mov_b64 vcc, -1
	s_or_b64 s[92:93], s[92:93], exec
	s_and_saveexec_b64 s[30:31], s[94:95]
	s_cbranch_execz .LBB2_546
.LBB2_550:                              ;   in Loop: Header=BB2_547 Depth=4
	s_sleep 1
	s_trap 2
	ds_read_b64 v[8:9], v0
	s_waitcnt lgkmcnt(0)
	s_andn2_b64 s[92:93], s[92:93], exec
	v_cmp_ge_u64_e32 vcc, v[8:9], v[10:11]
	s_orn2_b64 vcc, vcc, exec
	s_branch .LBB2_546
.LBB2_551:                              ;   in Loop: Header=BB2_447 Depth=3
	s_or_b64 exec, exec, s[88:89]
	s_and_saveexec_b64 s[88:89], s[90:91]
	s_xor_b64 s[88:89], exec, s[88:89]
	s_cbranch_execz .LBB2_553
; %bb.552:                              ;   in Loop: Header=BB2_447 Depth=3
	ds_write_b32 v0, v1
	s_trap 2
.LBB2_553:                              ;   in Loop: Header=BB2_447 Depth=3
	s_or_b64 exec, exec, s[78:79]
	;;#ASMSTART
	s_wakeup
	;;#ASMEND
.LBB2_554:                              ;   in Loop: Header=BB2_447 Depth=3
	s_or_b64 exec, exec, s[76:77]
.LBB2_555:                              ;   in Loop: Header=BB2_447 Depth=3
	s_andn2_saveexec_b64 s[74:75], s[74:75]
	s_cbranch_execz .LBB2_557
; %bb.556:                              ;   in Loop: Header=BB2_447 Depth=3
	s_waitcnt vmcnt(0) lgkmcnt(0)
	buffer_wbinvl1_vol
	s_barrier
.LBB2_557:                              ;   in Loop: Header=BB2_447 Depth=3
	s_or_b64 exec, exec, s[74:75]
.LBB2_558:                              ;   in Loop: Header=BB2_447 Depth=3
	s_or_b64 exec, exec, s[72:73]
	v_and_b32_e32 v8, 16, v48
	v_cmp_ne_u32_e32 vcc, 0, v8
	s_and_b64 s[72:73], vcc, s[22:23]
	s_and_saveexec_b64 s[22:23], s[72:73]
	s_cbranch_execz .LBB2_560
; %bb.559:                              ;   in Loop: Header=BB2_447 Depth=3
	s_waitcnt vmcnt(0) lgkmcnt(0)
	buffer_wbinvl1_vol
.LBB2_560:                              ;   in Loop: Header=BB2_447 Depth=3
	s_or_b64 exec, exec, s[22:23]
	v_and_b32_e32 v8, 32, v48
	v_cmp_ne_u32_e32 vcc, 0, v8
	s_and_saveexec_b64 s[22:23], vcc
	s_cbranch_execz .LBB2_446
; %bb.561:                              ;   in Loop: Header=BB2_447 Depth=3
	v_add_co_u32_e32 v50, vcc, 2, v50
	v_addc_co_u32_e32 v51, vcc, 0, v51, vcc
	flat_store_dwordx2 v[16:17], v[50:51]
	s_branch .LBB2_446
.LBB2_562:                              ;   in Loop: Header=BB2_89 Depth=2
	s_or_b64 exec, exec, s[60:61]
.LBB2_563:                              ;   in Loop: Header=BB2_89 Depth=2
	s_or_b64 exec, exec, s[58:59]
	v_cmp_gt_i32_e32 vcc, 2, v8
	s_mov_b64 s[58:59], exec
	buffer_load_dword v44, off, s[0:3], s33 offset:64 ; 4-byte Folded Reload
	buffer_load_dword v45, off, s[0:3], s33 offset:68 ; 4-byte Folded Reload
	s_and_b64 s[22:23], s[58:59], vcc
	s_mov_b64 exec, s[22:23]
	s_cbranch_execz .LBB2_88
; %bb.564:                              ;   in Loop: Header=BB2_89 Depth=2
	v_cmp_eq_u32_e64 s[62:63], 0, v8
	s_mov_b64 s[60:61], 0
	s_branch .LBB2_566
.LBB2_565:                              ;   in Loop: Header=BB2_566 Depth=3
	s_or_b64 exec, exec, s[22:23]
	v_add_u32_e32 v42, v33, v42
	s_mov_b64 s[62:63], 0
	s_andn2_b64 exec, exec, s[60:61]
	s_cbranch_execz .LBB2_87
.LBB2_566:                              ;   Parent Loop BB2_53 Depth=1
                                        ;     Parent Loop BB2_89 Depth=2
                                        ; =>    This Loop Header: Depth=3
                                        ;         Child Loop BB2_572 Depth 4
                                        ;         Child Loop BB2_596 Depth 4
	v_and_b32_e32 v8, 4, v48
	v_cmp_ne_u32_e32 vcc, 0, v8
	s_and_saveexec_b64 s[72:73], vcc
	s_cbranch_execz .LBB2_588
; %bb.567:                              ;   in Loop: Header=BB2_566 Depth=3
	v_add_co_u32_e32 v8, vcc, 2, v50
	v_addc_co_u32_e32 v9, vcc, 0, v51, vcc
	s_waitcnt vmcnt(0)
	v_cmp_lt_u64_e32 vcc, v[22:23], v[8:9]
	s_and_saveexec_b64 s[74:75], vcc
	s_cbranch_execz .LBB2_579
; %bb.568:                              ;   in Loop: Header=BB2_566 Depth=3
	v_and_b32_e32 v13, 64, v48
	s_mov_b32 s38, 0
	v_cmp_eq_u32_e32 vcc, 0, v13
	s_mov_b64 s[76:77], 0
                                        ; implicit-def: $sgpr78_sgpr79
                                        ; implicit-def: $sgpr88_sgpr89
                                        ; implicit-def: $sgpr90_sgpr91
	s_branch .LBB2_572
.LBB2_569:                              ;   in Loop: Header=BB2_572 Depth=4
	s_waitcnt vmcnt(0) lgkmcnt(0)
	v_cmp_ge_u64_e64 s[22:23], v[22:23], v[8:9]
	s_or_b64 s[30:31], s[30:31], exec
	s_orn2_b64 s[94:95], s[22:23], exec
.LBB2_570:                              ;   in Loop: Header=BB2_572 Depth=4
	s_or_b64 exec, exec, s[36:37]
	s_andn2_b64 s[22:23], s[90:91], exec
	s_and_b64 s[90:91], s[30:31], exec
	s_or_b64 s[90:91], s[22:23], s[90:91]
	s_andn2_b64 s[22:23], s[88:89], exec
	s_and_b64 s[88:89], s[94:95], exec
	s_or_b64 s[88:89], s[22:23], s[88:89]
.LBB2_571:                              ;   in Loop: Header=BB2_572 Depth=4
	s_or_b64 exec, exec, s[92:93]
	s_and_b64 s[22:23], exec, s[88:89]
	s_or_b64 s[76:77], s[22:23], s[76:77]
	s_andn2_b64 s[22:23], s[78:79], exec
	s_and_b64 s[78:79], s[90:91], exec
	s_or_b64 s[78:79], s[22:23], s[78:79]
	s_andn2_b64 exec, exec, s[76:77]
	s_cbranch_execz .LBB2_576
.LBB2_572:                              ;   Parent Loop BB2_53 Depth=1
                                        ;     Parent Loop BB2_89 Depth=2
                                        ;       Parent Loop BB2_566 Depth=3
                                        ; =>      This Inner Loop Header: Depth=4
	s_sleep 1
	s_waitcnt vmcnt(0) lgkmcnt(0)
	flat_load_dwordx2 v[22:23], v[16:17] glc
	s_or_b64 s[90:91], s[90:91], exec
	s_or_b64 s[88:89], s[88:89], exec
                                        ; implicit-def: $vgpr51
	s_and_saveexec_b64 s[92:93], vcc
	s_cbranch_execz .LBB2_571
; %bb.573:                              ;   in Loop: Header=BB2_572 Depth=4
	s_cmpk_lt_i32 s38, 0x270f
	s_cselect_b64 s[34:35], -1, 0
	s_cmpk_gt_i32 s38, 0x270e
	s_mov_b64 s[94:95], -1
	s_cbranch_scc0 .LBB2_575
; %bb.574:                              ;   in Loop: Header=BB2_572 Depth=4
	s_trap 2
	ds_read_b64 v[27:28], v0
	s_andn2_b64 s[34:35], s[34:35], exec
	s_mov_b32 s38, 0
	s_mov_b64 s[30:31], 0
	s_waitcnt vmcnt(0) lgkmcnt(0)
	flat_load_dword v51, v[27:28] glc
	s_waitcnt vmcnt(0) lgkmcnt(0)
	buffer_wbinvl1_vol
	v_cmp_eq_u32_e64 s[22:23], 0, v51
	s_and_b64 s[22:23], s[22:23], exec
	s_or_b64 s[34:35], s[34:35], s[22:23]
	s_and_saveexec_b64 s[36:37], s[34:35]
	s_cbranch_execz .LBB2_570
	s_branch .LBB2_569
.LBB2_575:                              ;   in Loop: Header=BB2_572 Depth=4
	s_add_i32 s38, s38, 1
	s_mov_b64 s[30:31], -1
                                        ; implicit-def: $vgpr51
	s_and_saveexec_b64 s[36:37], s[34:35]
	s_cbranch_execz .LBB2_570
	s_branch .LBB2_569
.LBB2_576:                              ;   in Loop: Header=BB2_566 Depth=3
	s_or_b64 exec, exec, s[76:77]
	s_xor_b64 s[22:23], s[78:79], -1
	s_and_saveexec_b64 s[76:77], s[22:23]
	s_xor_b64 s[22:23], exec, s[76:77]
	s_cbranch_execz .LBB2_578
; %bb.577:                              ;   in Loop: Header=BB2_566 Depth=3
	v_or_b32_e32 v48, 64, v48
	s_waitcnt lgkmcnt(0)
	ds_write_b32 v0, v51
	s_trap 2
.LBB2_578:                              ;   in Loop: Header=BB2_566 Depth=3
	s_or_b64 exec, exec, s[22:23]
.LBB2_579:                              ;   in Loop: Header=BB2_566 Depth=3
	s_or_b64 exec, exec, s[74:75]
	v_and_b32_e32 v13, 0x100, v48
	v_cmp_ne_u32_e32 vcc, 0, v13
	v_and_b32_e32 v24, 7, v50
	s_mov_b64 s[22:23], -1
	;;#ASMSTART
	s_wakeup
	;;#ASMEND
                                        ; implicit-def: $vgpr50_vgpr51
	s_and_saveexec_b64 s[74:75], vcc
	s_cbranch_execz .LBB2_583
; %bb.580:                              ;   in Loop: Header=BB2_566 Depth=3
	v_mad_u64_u32 v[54:55], s[22:23], v24, 24, v[4:5]
                                        ; implicit-def: $vgpr50_vgpr51
	flat_load_dword v13, v[54:55]
	s_waitcnt vmcnt(0) lgkmcnt(0)
	v_cmp_ne_u32_e32 vcc, 1, v13
	v_cmp_eq_u32_e64 s[22:23], 1, v13
	s_and_saveexec_b64 s[76:77], s[22:23]
	s_cbranch_execz .LBB2_582
; %bb.581:                              ;   in Loop: Header=BB2_566 Depth=3
	flat_load_dword v50, v[54:55] offset:4 glc
	s_waitcnt vmcnt(0) lgkmcnt(0)
	v_ashrrev_i32_e32 v51, 31, v50
.LBB2_582:                              ;   in Loop: Header=BB2_566 Depth=3
	s_or_b64 exec, exec, s[76:77]
	s_orn2_b64 s[22:23], vcc, exec
.LBB2_583:                              ;   in Loop: Header=BB2_566 Depth=3
	s_or_b64 exec, exec, s[74:75]
	s_and_saveexec_b64 s[74:75], s[22:23]
; %bb.584:                              ;   in Loop: Header=BB2_566 Depth=3
	v_mad_i64_i32 v[50:51], s[22:23], v24, v49, 0
; %bb.585:                              ;   in Loop: Header=BB2_566 Depth=3
	s_or_b64 exec, exec, s[74:75]
	v_add_co_u32_e32 v27, vcc, v18, v50
	v_addc_co_u32_e32 v28, vcc, v19, v51, vcc
	v_and_b32_e32 v13, 0x2000, v48
	v_cmp_ne_u32_e32 vcc, 0, v13
	ds_write_b64 v0, v[27:28] offset:720
	s_and_saveexec_b64 s[22:23], vcc
	s_cbranch_execz .LBB2_587
; %bb.586:                              ;   in Loop: Header=BB2_566 Depth=3
	ds_read_b64 v[27:28], v0 offset:872
	s_waitcnt lgkmcnt(0)
	v_add_co_u32_e32 v27, vcc, 1, v27
	v_addc_co_u32_e32 v28, vcc, 0, v28, vcc
	ds_write_b64 v0, v[27:28] offset:872
.LBB2_587:                              ;   in Loop: Header=BB2_566 Depth=3
	s_or_b64 exec, exec, s[22:23]
	v_mov_b32_e32 v51, v9
	v_mov_b32_e32 v50, v8
.LBB2_588:                              ;   in Loop: Header=BB2_566 Depth=3
	s_or_b64 exec, exec, s[72:73]
	s_xor_b64 s[22:23], s[62:63], -1
	s_and_b64 s[22:23], exec, s[22:23]
	s_or_b64 s[60:61], s[22:23], s[60:61]
	s_and_saveexec_b64 s[22:23], s[6:7]
	s_cbranch_execz .LBB2_607
; %bb.589:                              ;   in Loop: Header=BB2_566 Depth=3
	s_and_saveexec_b64 s[62:63], s[28:29]
	s_xor_b64 s[62:63], exec, s[62:63]
	s_cbranch_execz .LBB2_604
; %bb.590:                              ;   in Loop: Header=BB2_566 Depth=3
	s_and_saveexec_b64 s[72:73], s[12:13]
	s_cbranch_execz .LBB2_603
; %bb.591:                              ;   in Loop: Header=BB2_566 Depth=3
	s_mov_b64 s[76:77], exec
	v_mbcnt_lo_u32_b32 v8, s76, 0
	v_mbcnt_hi_u32_b32 v8, s77, v8
	v_cmp_eq_u32_e32 vcc, 0, v8
	s_waitcnt vmcnt(0) lgkmcnt(0)
	buffer_wbinvl1_vol
	s_and_saveexec_b64 s[74:75], vcc
	s_cbranch_execz .LBB2_593
; %bb.592:                              ;   in Loop: Header=BB2_566 Depth=3
	s_bcnt1_i32_b64 s76, s[76:77]
	v_mov_b32_e32 v8, s76
	v_mov_b32_e32 v9, v32
	ds_add_u64 v0, v[8:9]
	s_trap 2
.LBB2_593:                              ;   in Loop: Header=BB2_566 Depth=3
	s_or_b64 exec, exec, s[74:75]
	s_trap 2
	ds_read_b64 v[8:9], v0
	s_waitcnt lgkmcnt(0)
	v_add_co_u32_e32 v10, vcc, v10, v31
	v_addc_co_u32_e32 v11, vcc, 0, v11, vcc
	v_cmp_lt_u64_e32 vcc, v[8:9], v[10:11]
	s_and_saveexec_b64 s[74:75], vcc
	s_cbranch_execz .LBB2_602
; %bb.594:                              ;   in Loop: Header=BB2_566 Depth=3
	s_mov_b32 s30, 0
	s_mov_b64 s[76:77], 0
                                        ; implicit-def: $sgpr78_sgpr79
                                        ; implicit-def: $sgpr88_sgpr89
	s_branch .LBB2_596
.LBB2_595:                              ;   in Loop: Header=BB2_596 Depth=4
	s_or_b64 exec, exec, s[92:93]
	s_and_b64 s[90:91], exec, s[94:95]
	s_or_b64 s[76:77], s[90:91], s[76:77]
	s_andn2_b64 s[78:79], s[78:79], exec
	s_and_b64 s[90:91], s[88:89], exec
	s_or_b64 s[78:79], s[78:79], s[90:91]
	s_andn2_b64 exec, exec, s[76:77]
	s_cbranch_execz .LBB2_600
.LBB2_596:                              ;   Parent Loop BB2_53 Depth=1
                                        ;     Parent Loop BB2_89 Depth=2
                                        ;       Parent Loop BB2_566 Depth=3
                                        ; =>      This Inner Loop Header: Depth=4
	s_add_i32 s30, s30, 1
	s_cmpk_lg_i32 s30, 0x2710
	s_cselect_b64 s[90:91], -1, 0
	s_and_b64 vcc, exec, s[90:91]
	s_cbranch_vccz .LBB2_598
; %bb.597:                              ;   in Loop: Header=BB2_596 Depth=4
	s_mov_b64 s[94:95], -1
	s_or_b64 s[88:89], s[88:89], exec
	s_and_saveexec_b64 s[92:93], s[90:91]
	s_cbranch_execz .LBB2_595
	s_branch .LBB2_599
.LBB2_598:                              ;   in Loop: Header=BB2_596 Depth=4
	s_trap 2
	ds_read_b64 v[8:9], v0
	s_andn2_b64 s[90:91], s[90:91], exec
	s_mov_b32 s30, 0
	s_waitcnt lgkmcnt(0)
	flat_load_dword v8, v[8:9] glc
	s_waitcnt vmcnt(0) lgkmcnt(0)
	buffer_wbinvl1_vol
	v_cmp_eq_u32_e32 vcc, 0, v8
	s_and_b64 s[92:93], vcc, exec
	s_or_b64 s[90:91], s[90:91], s[92:93]
	s_mov_b64 s[94:95], -1
	s_or_b64 s[88:89], s[88:89], exec
	s_and_saveexec_b64 s[92:93], s[90:91]
	s_cbranch_execz .LBB2_595
.LBB2_599:                              ;   in Loop: Header=BB2_596 Depth=4
	s_sleep 1
	s_trap 2
	ds_read_b64 v[8:9], v0
	s_waitcnt lgkmcnt(0)
	s_andn2_b64 s[88:89], s[88:89], exec
	v_cmp_ge_u64_e32 vcc, v[8:9], v[10:11]
	s_orn2_b64 s[94:95], vcc, exec
	s_branch .LBB2_595
.LBB2_600:                              ;   in Loop: Header=BB2_566 Depth=3
	s_or_b64 exec, exec, s[76:77]
	s_and_saveexec_b64 s[76:77], s[78:79]
	s_xor_b64 s[76:77], exec, s[76:77]
	s_cbranch_execz .LBB2_602
; %bb.601:                              ;   in Loop: Header=BB2_566 Depth=3
	ds_write_b32 v0, v1
	s_trap 2
.LBB2_602:                              ;   in Loop: Header=BB2_566 Depth=3
	s_or_b64 exec, exec, s[74:75]
	;;#ASMSTART
	s_wakeup
	;;#ASMEND
.LBB2_603:                              ;   in Loop: Header=BB2_566 Depth=3
	s_or_b64 exec, exec, s[72:73]
.LBB2_604:                              ;   in Loop: Header=BB2_566 Depth=3
	s_andn2_saveexec_b64 s[62:63], s[62:63]
	s_cbranch_execz .LBB2_606
; %bb.605:                              ;   in Loop: Header=BB2_566 Depth=3
	s_waitcnt vmcnt(0) lgkmcnt(0)
	buffer_wbinvl1_vol
	s_barrier
.LBB2_606:                              ;   in Loop: Header=BB2_566 Depth=3
	s_or_b64 exec, exec, s[62:63]
.LBB2_607:                              ;   in Loop: Header=BB2_566 Depth=3
	s_or_b64 exec, exec, s[22:23]
	v_sub_u32_e32 v8, v25, v42
	v_min_i32_e32 v33, v33, v8
	s_trap 2
	ds_read_b32 v8, v0
	v_cmp_lt_i32_e32 vcc, 0, v33
	s_waitcnt lgkmcnt(0)
	v_readfirstlane_b32 s22, v8
	s_cmp_eq_u32 s22, 0
	s_cselect_b64 s[22:23], -1, 0
	v_and_b32_e32 v8, 16, v48
	s_and_b64 s[22:23], vcc, s[22:23]
	v_cmp_ne_u32_e32 vcc, 0, v8
	s_and_b64 s[62:63], vcc, s[22:23]
	s_and_saveexec_b64 s[22:23], s[62:63]
	s_cbranch_execz .LBB2_609
; %bb.608:                              ;   in Loop: Header=BB2_566 Depth=3
	s_waitcnt vmcnt(0)
	buffer_wbinvl1_vol
.LBB2_609:                              ;   in Loop: Header=BB2_566 Depth=3
	s_or_b64 exec, exec, s[22:23]
	v_and_b32_e32 v8, 32, v48
	v_cmp_ne_u32_e32 vcc, 0, v8
	s_and_saveexec_b64 s[22:23], vcc
	s_cbranch_execz .LBB2_565
; %bb.610:                              ;   in Loop: Header=BB2_566 Depth=3
	v_add_co_u32_e32 v50, vcc, 2, v50
	v_addc_co_u32_e32 v51, vcc, 0, v51, vcc
	flat_store_dwordx2 v[16:17], v[50:51]
	s_branch .LBB2_565
.LBB2_611:                              ;   in Loop: Header=BB2_53 Depth=1
	s_or_b64 exec, exec, s[46:47]
.LBB2_612:                              ;   in Loop: Header=BB2_53 Depth=1
	s_or_b64 exec, exec, s[44:45]
.LBB2_613:                              ;   in Loop: Header=BB2_53 Depth=1
	s_or_b64 exec, exec, s[42:43]
	s_add_i32 s22, s26, 1
	s_add_i32 s49, s49, 1
	s_cmp_eq_u32 s26, s50
	s_cbranch_scc1 .LBB2_615
; %bb.614:                              ;   in Loop: Header=BB2_53 Depth=1
	s_mov_b32 s26, s22
	s_branch .LBB2_53
.LBB2_615:
	buffer_load_dword v1, off, s[0:3], s33 offset:184 ; 4-byte Folded Reload
.LBB2_616:
	v_and_b32_e32 v0, 0x800, v48
	v_cmp_eq_u32_e32 vcc, 0, v0
	s_and_saveexec_b64 s[6:7], vcc
	s_cbranch_execz .LBB2_649
; %bb.617:
	v_and_b32_e32 v0, 48, v48
	v_cmp_ne_u32_e32 vcc, 0, v0
	s_and_saveexec_b64 s[4:5], vcc
	s_cbranch_execz .LBB2_619
; %bb.618:
	buffer_load_dword v2, off, s[0:3], s33 offset:160 ; 4-byte Folded Reload
	buffer_load_dword v3, off, s[0:3], s33 offset:164 ; 4-byte Folded Reload
	s_waitcnt vmcnt(0)
	flat_store_dwordx2 v[2:3], v[50:51] offset:104
.LBB2_619:
	s_or_b64 exec, exec, s[4:5]
	s_movk_i32 s4, 0x88
	v_and_b32_e32 v0, 0x88, v48
	v_cmp_eq_u32_e32 vcc, s4, v0
	s_and_saveexec_b64 s[10:11], vcc
	s_cbranch_execz .LBB2_629
; %bb.620:
	v_add_u32_e32 v0, 6, v50
	v_and_b32_e32 v0, 7, v0
	v_mad_u64_u32 v[2:3], s[4:5], v0, 24, v[4:5]
	v_and_b32_e32 v4, 64, v48
	v_cmp_eq_u32_e64 s[4:5], 0, v4
	flat_load_dwordx2 v[5:6], v[2:3] offset:8 glc
	s_waitcnt vmcnt(0)
	s_mov_b32 s22, 0
	s_waitcnt lgkmcnt(0)
	v_cmp_ne_u64_e32 vcc, -1, v[5:6]
	s_and_b64 s[4:5], vcc, s[4:5]
	s_and_b64 exec, exec, s[4:5]
	s_cbranch_execz .LBB2_629
; %bb.621:
	s_mov_b64 s[4:5], 0
                                        ; implicit-def: $sgpr12_sgpr13
                                        ; implicit-def: $sgpr14_sgpr15
	s_branch .LBB2_624
.LBB2_622:                              ;   in Loop: Header=BB2_624 Depth=1
	flat_load_dwordx2 v[4:5], v[2:3] offset:8 glc
	s_waitcnt vmcnt(0)
	s_andn2_b64 s[14:15], s[14:15], exec
	s_waitcnt lgkmcnt(0)
	v_cmp_eq_u64_e32 vcc, -1, v[4:5]
	s_orn2_b64 s[18:19], vcc, exec
.LBB2_623:                              ;   in Loop: Header=BB2_624 Depth=1
	s_or_b64 exec, exec, s[20:21]
	s_and_b64 s[16:17], exec, s[18:19]
	s_or_b64 s[4:5], s[16:17], s[4:5]
	s_andn2_b64 s[12:13], s[12:13], exec
	s_and_b64 s[16:17], s[14:15], exec
	s_or_b64 s[12:13], s[12:13], s[16:17]
	s_andn2_b64 exec, exec, s[4:5]
	s_cbranch_execz .LBB2_627
.LBB2_624:                              ; =>This Inner Loop Header: Depth=1
	s_cmpk_lt_i32 s22, 0x270f
	s_cselect_b64 s[16:17], -1, 0
	s_and_b64 vcc, exec, s[16:17]
	s_cbranch_vccnz .LBB2_626
; %bb.625:                              ;   in Loop: Header=BB2_624 Depth=1
	s_trap 2
	ds_read_b64 v[4:5], v0
	s_andn2_b64 s[16:17], s[16:17], exec
	s_mov_b32 s22, 0
	s_waitcnt lgkmcnt(0)
	flat_load_dword v0, v[4:5] glc
	s_waitcnt vmcnt(0) lgkmcnt(0)
	buffer_wbinvl1_vol
	v_cmp_eq_u32_e32 vcc, 0, v0
	s_and_b64 s[18:19], vcc, exec
	s_or_b64 s[16:17], s[16:17], s[18:19]
	s_mov_b64 s[18:19], -1
	s_or_b64 s[14:15], s[14:15], exec
	s_and_saveexec_b64 s[20:21], s[16:17]
	s_cbranch_execz .LBB2_623
	s_branch .LBB2_622
.LBB2_626:                              ;   in Loop: Header=BB2_624 Depth=1
	s_add_i32 s22, s22, 1
                                        ; implicit-def: $vgpr0
	s_mov_b64 s[18:19], -1
	s_or_b64 s[14:15], s[14:15], exec
	s_and_saveexec_b64 s[20:21], s[16:17]
	s_cbranch_execz .LBB2_623
	s_branch .LBB2_622
.LBB2_627:
	s_or_b64 exec, exec, s[4:5]
	s_and_saveexec_b64 s[4:5], s[12:13]
	s_xor_b64 s[4:5], exec, s[4:5]
	s_cbranch_execz .LBB2_629
; %bb.628:
	ds_write_b32 v0, v0
	s_trap 2
.LBB2_629:
	s_or_b64 exec, exec, s[10:11]
	v_and_b32_e32 v0, 0x2000, v48
	v_cmp_ne_u32_e32 vcc, 0, v0
	s_and_saveexec_b64 s[4:5], vcc
	s_cbranch_execz .LBB2_631
; %bb.630:
	s_trap 2
	ds_read_b64 v[2:3], v0
	buffer_load_dword v4, off, s[0:3], s33 offset:188 ; 4-byte Folded Reload
	buffer_load_dword v5, off, s[0:3], s33 offset:192 ; 4-byte Folded Reload
	s_waitcnt vmcnt(0) lgkmcnt(0)
	flat_store_dwordx2 v[4:5], v[2:3] offset:16
.LBB2_631:
	s_or_b64 exec, exec, s[4:5]
	s_waitcnt vmcnt(0)
	v_cmp_ne_u32_e32 vcc, 64, v1
	s_and_b64 exec, exec, vcc
	s_cbranch_execz .LBB2_649
; %bb.632:
	buffer_load_dword v0, off, s[0:3], s33 offset:172 ; 4-byte Folded Reload
	s_waitcnt vmcnt(0)
	v_cmp_ne_u32_sdwa s[4:5], v1, v0 src0_sel:DWORD src1_sel:WORD_0
	s_and_saveexec_b64 s[10:11], s[4:5]
	s_xor_b64 s[4:5], exec, s[10:11]
	s_cbranch_execz .LBB2_647
; %bb.633:
	buffer_load_dword v0, off, s[0:3], s33 offset:168 ; 4-byte Folded Reload
	s_waitcnt vmcnt(0)
	v_and_b32_e32 v0, 63, v0
	v_cmp_eq_u32_e32 vcc, 0, v0
	s_and_saveexec_b64 s[10:11], vcc
	s_cbranch_execz .LBB2_646
; %bb.634:
	s_mov_b64 s[14:15], exec
	v_mbcnt_lo_u32_b32 v0, s14, 0
	v_mbcnt_hi_u32_b32 v0, s15, v0
	v_cmp_eq_u32_e32 vcc, 0, v0
	s_waitcnt lgkmcnt(0)
	buffer_wbinvl1_vol
	s_and_saveexec_b64 s[12:13], vcc
	s_cbranch_execz .LBB2_636
; %bb.635:
	s_bcnt1_i32_b64 s14, s[14:15]
	v_mov_b32_e32 v2, s14
	v_mov_b32_e32 v3, 0
	ds_add_u64 v0, v[2:3]
	s_trap 2
.LBB2_636:
	s_or_b64 exec, exec, s[12:13]
	v_lshrrev_b32_e32 v0, 6, v1
	s_trap 2
	ds_read_b64 v[2:3], v0
	s_waitcnt lgkmcnt(0)
	v_add_co_u32_e32 v0, vcc, v10, v0
	v_addc_co_u32_e32 v1, vcc, 0, v11, vcc
	v_cmp_lt_u64_e32 vcc, v[2:3], v[0:1]
	s_and_saveexec_b64 s[12:13], vcc
	s_cbranch_execz .LBB2_645
; %bb.637:
	s_mov_b32 s28, 0
	s_mov_b64 s[14:15], 0
                                        ; implicit-def: $sgpr16_sgpr17
                                        ; implicit-def: $sgpr18_sgpr19
	s_branch .LBB2_639
.LBB2_638:                              ;   in Loop: Header=BB2_639 Depth=1
	s_or_b64 exec, exec, s[22:23]
	s_and_b64 s[20:21], exec, s[26:27]
	s_or_b64 s[14:15], s[20:21], s[14:15]
	s_andn2_b64 s[16:17], s[16:17], exec
	s_and_b64 s[20:21], s[18:19], exec
	s_or_b64 s[16:17], s[16:17], s[20:21]
	s_andn2_b64 exec, exec, s[14:15]
	s_cbranch_execz .LBB2_643
.LBB2_639:                              ; =>This Inner Loop Header: Depth=1
	s_add_i32 s28, s28, 1
	s_cmpk_lg_i32 s28, 0x2710
	s_cselect_b64 s[20:21], -1, 0
	s_and_b64 vcc, exec, s[20:21]
	s_cbranch_vccz .LBB2_641
; %bb.640:                              ;   in Loop: Header=BB2_639 Depth=1
	s_mov_b64 s[26:27], -1
	s_or_b64 s[18:19], s[18:19], exec
	s_and_saveexec_b64 s[22:23], s[20:21]
	s_cbranch_execz .LBB2_638
	s_branch .LBB2_642
.LBB2_641:                              ;   in Loop: Header=BB2_639 Depth=1
	s_trap 2
	ds_read_b64 v[2:3], v0
	s_andn2_b64 s[20:21], s[20:21], exec
	s_mov_b32 s28, 0
	s_waitcnt lgkmcnt(0)
	flat_load_dword v2, v[2:3] glc
	s_waitcnt vmcnt(0) lgkmcnt(0)
	buffer_wbinvl1_vol
	v_cmp_eq_u32_e32 vcc, 0, v2
	s_and_b64 s[22:23], vcc, exec
	s_or_b64 s[20:21], s[20:21], s[22:23]
	s_mov_b64 s[26:27], -1
	s_or_b64 s[18:19], s[18:19], exec
	s_and_saveexec_b64 s[22:23], s[20:21]
	s_cbranch_execz .LBB2_638
.LBB2_642:                              ;   in Loop: Header=BB2_639 Depth=1
	s_sleep 1
	s_trap 2
	ds_read_b64 v[2:3], v0
	s_waitcnt lgkmcnt(0)
	s_andn2_b64 s[18:19], s[18:19], exec
	v_cmp_ge_u64_e32 vcc, v[2:3], v[0:1]
	s_orn2_b64 s[26:27], vcc, exec
	s_branch .LBB2_638
.LBB2_643:
	s_or_b64 exec, exec, s[14:15]
	s_and_saveexec_b64 s[14:15], s[16:17]
	s_xor_b64 s[14:15], exec, s[14:15]
	s_cbranch_execz .LBB2_645
; %bb.644:
	v_mov_b32_e32 v0, 1
	ds_write_b32 v0, v0
	s_trap 2
.LBB2_645:
	s_or_b64 exec, exec, s[12:13]
	;;#ASMSTART
	s_wakeup
	;;#ASMEND
.LBB2_646:
	s_or_b64 exec, exec, s[10:11]
.LBB2_647:
	s_andn2_saveexec_b64 s[4:5], s[4:5]
	s_cbranch_execz .LBB2_649
; %bb.648:
	s_waitcnt lgkmcnt(0)
	buffer_wbinvl1_vol
	s_barrier
.LBB2_649:
	s_or_b64 exec, exec, s[6:7]
.LBB2_650:
	s_andn2_saveexec_b64 s[26:27], s[24:25]
	s_cbranch_execz .LBB2_652
; %bb.651:
	s_getpc_b64 s[4:5]
	s_add_u32 s4, s4, __PRETTY_FUNCTION__._ZN10PrimitivesIa7FuncSumIaE12FanSymmetricILi1EELi0E11ProtoSimpleILi2ELi2ELi0ELi1ELi0ELi0EELi0ELb0ELi0ELi0ELi0EEC2EiiPKiS8_PKvPvmhhhP15ncclDevWorkCollP14ncclDevWorkP2pii@rel32@lo+4
	s_addc_u32 s5, s5, __PRETTY_FUNCTION__._ZN10PrimitivesIa7FuncSumIaE12FanSymmetricILi1EELi0E11ProtoSimpleILi2ELi2ELi0ELi1ELi0ELi0EELi0ELb0ELi0ELi0ELi0EEC2EiiPKiS8_PKvPvmhhhP15ncclDevWorkCollP14ncclDevWorkP2pii@rel32@hi+12
	s_getpc_b64 s[6:7]
	s_add_u32 s6, s6, __assert_fail@rel32@lo+4
	s_addc_u32 s7, s7, __assert_fail@rel32@hi+12
	v_mov_b32_e32 v0, s4
	s_waitcnt vmcnt(0)
	v_mov_b32_e32 v1, s5
	s_swappc_b64 s[30:31], s[6:7]
	; divergent unreachable
.LBB2_652:
	s_or_b64 exec, exec, s[26:27]
	buffer_load_dword v62, off, s[0:3], s33 ; 4-byte Folded Reload
	buffer_load_dword v61, off, s[0:3], s33 offset:4 ; 4-byte Folded Reload
	buffer_load_dword v60, off, s[0:3], s33 offset:8 ; 4-byte Folded Reload
	;; [unrolled: 1-line block ×14, first 2 shown]
	v_readlane_b32 s30, v63, 16
	v_readlane_b32 s31, v63, 17
	;; [unrolled: 1-line block ×18, first 2 shown]
	s_mov_b32 s32, s33
	v_readlane_b32 s4, v63, 18
	s_or_saveexec_b64 s[6:7], -1
	buffer_load_dword v63, off, s[0:3], s33 offset:196 ; 4-byte Folded Reload
	s_mov_b64 exec, s[6:7]
	s_mov_b32 s33, s4
	s_waitcnt vmcnt(0) lgkmcnt(0)
	s_setpc_b64 s[30:31]
.Lfunc_end2:
	.size	_ZN12_GLOBAL__N_17runRingIa7FuncSumIaE11ProtoSimpleILi2ELi2ELi0ELi1ELi0ELi0EELi0ELi1ELi0EEEviiP15ncclDevWorkColl, .Lfunc_end2-_ZN12_GLOBAL__N_17runRingIa7FuncSumIaE11ProtoSimpleILi2ELi2ELi0ELi1ELi0ELi0EELi0ELi1ELi0EEEviiP15ncclDevWorkColl
                                        ; -- End function
	.set .L_ZN12_GLOBAL__N_17runRingIa7FuncSumIaE11ProtoSimpleILi2ELi2ELi0ELi1ELi0ELi0EELi0ELi1ELi0EEEviiP15ncclDevWorkColl.num_vgpr, max(64, .L__assert_fail.num_vgpr)
	.set .L_ZN12_GLOBAL__N_17runRingIa7FuncSumIaE11ProtoSimpleILi2ELi2ELi0ELi1ELi0ELi0EELi0ELi1ELi0EEEviiP15ncclDevWorkColl.num_agpr, max(0, .L__assert_fail.num_agpr)
	.set .L_ZN12_GLOBAL__N_17runRingIa7FuncSumIaE11ProtoSimpleILi2ELi2ELi0ELi1ELi0ELi0EELi0ELi1ELi0EEEviiP15ncclDevWorkColl.numbered_sgpr, max(96, .L__assert_fail.numbered_sgpr)
	.set .L_ZN12_GLOBAL__N_17runRingIa7FuncSumIaE11ProtoSimpleILi2ELi2ELi0ELi1ELi0ELi0EELi0ELi1ELi0EEEviiP15ncclDevWorkColl.num_named_barrier, max(0, .L__assert_fail.num_named_barrier)
	.set .L_ZN12_GLOBAL__N_17runRingIa7FuncSumIaE11ProtoSimpleILi2ELi2ELi0ELi1ELi0ELi0EELi0ELi1ELi0EEEviiP15ncclDevWorkColl.private_seg_size, 208+max(.L__assert_fail.private_seg_size)
	.set .L_ZN12_GLOBAL__N_17runRingIa7FuncSumIaE11ProtoSimpleILi2ELi2ELi0ELi1ELi0ELi0EELi0ELi1ELi0EEEviiP15ncclDevWorkColl.uses_vcc, or(1, .L__assert_fail.uses_vcc)
	.set .L_ZN12_GLOBAL__N_17runRingIa7FuncSumIaE11ProtoSimpleILi2ELi2ELi0ELi1ELi0ELi0EELi0ELi1ELi0EEEviiP15ncclDevWorkColl.uses_flat_scratch, or(0, .L__assert_fail.uses_flat_scratch)
	.set .L_ZN12_GLOBAL__N_17runRingIa7FuncSumIaE11ProtoSimpleILi2ELi2ELi0ELi1ELi0ELi0EELi0ELi1ELi0EEEviiP15ncclDevWorkColl.has_dyn_sized_stack, or(0, .L__assert_fail.has_dyn_sized_stack)
	.set .L_ZN12_GLOBAL__N_17runRingIa7FuncSumIaE11ProtoSimpleILi2ELi2ELi0ELi1ELi0ELi0EELi0ELi1ELi0EEEviiP15ncclDevWorkColl.has_recursion, or(1, .L__assert_fail.has_recursion)
	.set .L_ZN12_GLOBAL__N_17runRingIa7FuncSumIaE11ProtoSimpleILi2ELi2ELi0ELi1ELi0ELi0EELi0ELi1ELi0EEEviiP15ncclDevWorkColl.has_indirect_call, or(0, .L__assert_fail.has_indirect_call)
	.section	.AMDGPU.csdata,"",@progbits
; Function info:
; codeLenInByte = 21720
; TotalNumSgprs: 100
; NumVgprs: 64
; ScratchSize: 272
; MemoryBound: 0
	.text
	.p2align	2                               ; -- Begin function _Z50ncclDevFunc_AlltoAllPivot_RING_SIMPLE_Sum_i8_0_0_1v
	.type	_Z50ncclDevFunc_AlltoAllPivot_RING_SIMPLE_Sum_i8_0_0_1v,@function
_Z50ncclDevFunc_AlltoAllPivot_RING_SIMPLE_Sum_i8_0_0_1v: ; @_Z50ncclDevFunc_AlltoAllPivot_RING_SIMPLE_Sum_i8_0_0_1v
; %bb.0:
	s_waitcnt vmcnt(0) expcnt(0) lgkmcnt(0)
	s_mov_b32 s4, s33
	s_mov_b32 s33, s32
	s_or_saveexec_b64 s[6:7], -1
	buffer_store_dword v43, off, s[0:3], s33 offset:16 ; 4-byte Folded Spill
	s_mov_b64 exec, s[6:7]
	v_writelane_b32 v43, s4, 24
	s_addk_i32 s32, 0x800
	buffer_store_dword v40, off, s[0:3], s33 offset:12 ; 4-byte Folded Spill
	buffer_store_dword v41, off, s[0:3], s33 offset:8 ; 4-byte Folded Spill
	;; [unrolled: 1-line block ×3, first 2 shown]
	buffer_store_dword v63, off, s[0:3], s33 ; 4-byte Folded Spill
	v_writelane_b32 v43, s34, 0
	v_writelane_b32 v43, s35, 1
	;; [unrolled: 1-line block ×24, first 2 shown]
	s_trap 2
	ds_read_b32 v0, v0
	v_mov_b32_e32 v40, v31
	s_mov_b32 s68, s12
	s_mov_b64 s[66:67], s[8:9]
	s_waitcnt lgkmcnt(0)
	v_cmp_gt_i32_e32 vcc, 1, v0
	s_cbranch_vccnz .LBB3_8
; %bb.1:
	s_mov_b32 s69, 0
	v_and_b32_e32 v41, 0x3ff, v40
	v_mov_b32_e32 v42, 6
	s_branch .LBB3_3
.LBB3_2:                                ;   in Loop: Header=BB3_3 Depth=1
	s_or_b64 exec, exec, s[70:71]
	s_trap 2
	ds_read_b32 v0, v0
	s_add_i32 s69, s69, 1
	s_waitcnt lgkmcnt(0)
	v_cmp_lt_i32_e32 vcc, s69, v0
	s_cbranch_vccz .LBB3_8
.LBB3_3:                                ; =>This Inner Loop Header: Depth=1
	s_trap 2
	ds_read_b32 v0, v0
	s_cmp_eq_u32 s69, 0
	s_cbranch_scc1 .LBB3_6
; %bb.4:                                ;   in Loop: Header=BB3_3 Depth=1
	s_trap 2
	s_waitcnt lgkmcnt(0)
	ds_read_b32 v1, v0
	s_waitcnt lgkmcnt(0)
	v_xor_b32_e32 v1, v1, v0
	v_and_b32_e32 v1, 0xff0000, v1
	v_cmp_eq_u32_e32 vcc, 0, v1
	s_cbranch_vccnz .LBB3_6
; %bb.5:                                ;   in Loop: Header=BB3_3 Depth=1
	s_waitcnt vmcnt(0)
	s_barrier
	ds_read_b32 v0, v0
.LBB3_6:                                ;   in Loop: Header=BB3_3 Depth=1
	s_waitcnt lgkmcnt(0)
	v_lshlrev_b32_sdwa v1, v42, v0 dst_sel:DWORD dst_unused:UNUSED_PAD src0_sel:DWORD src1_sel:BYTE_2
	v_cmp_lt_u32_e32 vcc, v41, v1
	s_and_saveexec_b64 s[70:71], vcc
	s_cbranch_execz .LBB3_2
; %bb.7:                                ;   in Loop: Header=BB3_3 Depth=1
	s_mov_b64 s[4:5], src_shared_base
	s_getpc_b64 s[6:7]
	s_add_u32 s6, s6, _ZN12_GLOBAL__N_17runRingIa7FuncSumIaE11ProtoSimpleILi2ELi2ELi0ELi1ELi0ELi0EELi0ELi1ELi0EEEviiP15ncclDevWorkColl@rel32@lo+4
	s_addc_u32 s7, s7, _ZN12_GLOBAL__N_17runRingIa7FuncSumIaE11ProtoSimpleILi2ELi2ELi0ELi1ELi0ELi0EELi0ELi1ELi0EEEviiP15ncclDevWorkColl@rel32@hi+12
	s_mov_b64 s[8:9], s[66:67]
	s_mov_b32 s12, s68
	v_mov_b32_e32 v31, v40
	v_mov_b32_e32 v0, v41
	;; [unrolled: 1-line block ×3, first 2 shown]
	s_swappc_b64 s[30:31], s[6:7]
	s_branch .LBB3_2
.LBB3_8:
	buffer_load_dword v63, off, s[0:3], s33 ; 4-byte Folded Reload
	buffer_load_dword v42, off, s[0:3], s33 offset:4 ; 4-byte Folded Reload
	buffer_load_dword v41, off, s[0:3], s33 offset:8 ; 4-byte Folded Reload
	;; [unrolled: 1-line block ×3, first 2 shown]
	v_readlane_b32 s30, v43, 22
	v_readlane_b32 s31, v43, 23
	;; [unrolled: 1-line block ×24, first 2 shown]
	s_mov_b32 s32, s33
	v_readlane_b32 s4, v43, 24
	s_or_saveexec_b64 s[6:7], -1
	buffer_load_dword v43, off, s[0:3], s33 offset:16 ; 4-byte Folded Reload
	s_mov_b64 exec, s[6:7]
	s_mov_b32 s33, s4
	s_waitcnt vmcnt(0)
	s_setpc_b64 s[30:31]
.Lfunc_end3:
	.size	_Z50ncclDevFunc_AlltoAllPivot_RING_SIMPLE_Sum_i8_0_0_1v, .Lfunc_end3-_Z50ncclDevFunc_AlltoAllPivot_RING_SIMPLE_Sum_i8_0_0_1v
                                        ; -- End function
	.set .L_Z50ncclDevFunc_AlltoAllPivot_RING_SIMPLE_Sum_i8_0_0_1v.num_vgpr, max(64, .L_ZN12_GLOBAL__N_17runRingIa7FuncSumIaE11ProtoSimpleILi2ELi2ELi0ELi1ELi0ELi0EELi0ELi1ELi0EEEviiP15ncclDevWorkColl.num_vgpr)
	.set .L_Z50ncclDevFunc_AlltoAllPivot_RING_SIMPLE_Sum_i8_0_0_1v.num_agpr, max(0, .L_ZN12_GLOBAL__N_17runRingIa7FuncSumIaE11ProtoSimpleILi2ELi2ELi0ELi1ELi0ELi0EELi0ELi1ELi0EEEviiP15ncclDevWorkColl.num_agpr)
	.set .L_Z50ncclDevFunc_AlltoAllPivot_RING_SIMPLE_Sum_i8_0_0_1v.numbered_sgpr, max(72, .L_ZN12_GLOBAL__N_17runRingIa7FuncSumIaE11ProtoSimpleILi2ELi2ELi0ELi1ELi0ELi0EELi0ELi1ELi0EEEviiP15ncclDevWorkColl.numbered_sgpr)
	.set .L_Z50ncclDevFunc_AlltoAllPivot_RING_SIMPLE_Sum_i8_0_0_1v.num_named_barrier, max(0, .L_ZN12_GLOBAL__N_17runRingIa7FuncSumIaE11ProtoSimpleILi2ELi2ELi0ELi1ELi0ELi0EELi0ELi1ELi0EEEviiP15ncclDevWorkColl.num_named_barrier)
	.set .L_Z50ncclDevFunc_AlltoAllPivot_RING_SIMPLE_Sum_i8_0_0_1v.private_seg_size, 32+max(.L_ZN12_GLOBAL__N_17runRingIa7FuncSumIaE11ProtoSimpleILi2ELi2ELi0ELi1ELi0ELi0EELi0ELi1ELi0EEEviiP15ncclDevWorkColl.private_seg_size)
	.set .L_Z50ncclDevFunc_AlltoAllPivot_RING_SIMPLE_Sum_i8_0_0_1v.uses_vcc, or(1, .L_ZN12_GLOBAL__N_17runRingIa7FuncSumIaE11ProtoSimpleILi2ELi2ELi0ELi1ELi0ELi0EELi0ELi1ELi0EEEviiP15ncclDevWorkColl.uses_vcc)
	.set .L_Z50ncclDevFunc_AlltoAllPivot_RING_SIMPLE_Sum_i8_0_0_1v.uses_flat_scratch, or(0, .L_ZN12_GLOBAL__N_17runRingIa7FuncSumIaE11ProtoSimpleILi2ELi2ELi0ELi1ELi0ELi0EELi0ELi1ELi0EEEviiP15ncclDevWorkColl.uses_flat_scratch)
	.set .L_Z50ncclDevFunc_AlltoAllPivot_RING_SIMPLE_Sum_i8_0_0_1v.has_dyn_sized_stack, or(0, .L_ZN12_GLOBAL__N_17runRingIa7FuncSumIaE11ProtoSimpleILi2ELi2ELi0ELi1ELi0ELi0EELi0ELi1ELi0EEEviiP15ncclDevWorkColl.has_dyn_sized_stack)
	.set .L_Z50ncclDevFunc_AlltoAllPivot_RING_SIMPLE_Sum_i8_0_0_1v.has_recursion, or(1, .L_ZN12_GLOBAL__N_17runRingIa7FuncSumIaE11ProtoSimpleILi2ELi2ELi0ELi1ELi0ELi0EELi0ELi1ELi0EEEviiP15ncclDevWorkColl.has_recursion)
	.set .L_Z50ncclDevFunc_AlltoAllPivot_RING_SIMPLE_Sum_i8_0_0_1v.has_indirect_call, or(0, .L_ZN12_GLOBAL__N_17runRingIa7FuncSumIaE11ProtoSimpleILi2ELi2ELi0ELi1ELi0ELi0EELi0ELi1ELi0EEEviiP15ncclDevWorkColl.has_indirect_call)
	.section	.AMDGPU.csdata,"",@progbits
; Function info:
; codeLenInByte = 768
; TotalNumSgprs: 100
; NumVgprs: 64
; ScratchSize: 304
; MemoryBound: 0
	.text
	.p2align	2                               ; -- Begin function _ZN12_GLOBAL__N_17runRingIa7FuncSumIaE11ProtoSimpleILi2ELi2ELi0ELi2ELi0ELi0EELi0ELi2ELi0EEEviiP15ncclDevWorkColl
	.type	_ZN12_GLOBAL__N_17runRingIa7FuncSumIaE11ProtoSimpleILi2ELi2ELi0ELi2ELi0ELi0EELi0ELi2ELi0EEEviiP15ncclDevWorkColl,@function
_ZN12_GLOBAL__N_17runRingIa7FuncSumIaE11ProtoSimpleILi2ELi2ELi0ELi2ELi0ELi0EELi0ELi2ELi0EEEviiP15ncclDevWorkColl: ; @_ZN12_GLOBAL__N_17runRingIa7FuncSumIaE11ProtoSimpleILi2ELi2ELi0ELi2ELi0ELi0EELi0ELi2ELi0EEEviiP15ncclDevWorkColl
; %bb.0:
	s_waitcnt vmcnt(0) expcnt(0) lgkmcnt(0)
	s_mov_b32 s4, s33
	s_mov_b32 s33, s32
	s_or_saveexec_b64 s[6:7], -1
	buffer_store_dword v63, off, s[0:3], s33 offset:228 ; 4-byte Folded Spill
	s_mov_b64 exec, s[6:7]
	v_writelane_b32 v63, s4, 18
	s_addk_i32 s32, 0x3c00
	buffer_store_dword v40, off, s[0:3], s33 offset:56 ; 4-byte Folded Spill
	buffer_store_dword v41, off, s[0:3], s33 offset:52 ; 4-byte Folded Spill
	;; [unrolled: 1-line block ×14, first 2 shown]
	buffer_store_dword v62, off, s[0:3], s33 ; 4-byte Folded Spill
	v_writelane_b32 v63, s34, 0
	v_writelane_b32 v63, s35, 1
	;; [unrolled: 1-line block ×18, first 2 shown]
	v_mov_b32_e32 v53, v3
	v_mov_b32_e32 v52, v2
	buffer_store_dword v31, off, s[0:3], s33 offset:188 ; 4-byte Folded Spill
	buffer_store_dword v1, off, s[0:3], s33 offset:168 ; 4-byte Folded Spill
	s_trap 2
	flat_load_dword v2, v[52:53]
	flat_load_dwordx4 v[4:7], v[52:53] offset:72
	flat_load_dwordx2 v[8:9], v[52:53] offset:88
	ds_read_b32 v1, v0
                                        ; implicit-def: $vgpr28_vgpr29
	s_waitcnt lgkmcnt(0)
	v_readfirstlane_b32 s48, v1
	s_waitcnt vmcnt(0)
	v_and_b32_e32 v12, 0xff, v2
	v_bfe_u32 v13, v2, 8, 8
	v_cmp_ne_u32_e32 vcc, v1, v12
	s_and_saveexec_b64 s[4:5], vcc
	s_xor_b64 s[4:5], exec, s[4:5]
	s_cbranch_execz .LBB4_6
; %bb.1:
	flat_load_dwordx2 v[10:11], v[52:53] offset:96
	v_cmp_ne_u32_e32 vcc, v1, v13
                                        ; implicit-def: $vgpr28_vgpr29
	s_and_saveexec_b64 s[6:7], vcc
	s_xor_b64 s[6:7], exec, s[6:7]
	s_cbranch_execz .LBB4_3
; %bb.2:
	s_waitcnt vmcnt(0) lgkmcnt(0)
	v_lshrrev_b64 v[28:29], 12, v[10:11]
                                        ; implicit-def: $vgpr10_vgpr11
.LBB4_3:
	s_andn2_saveexec_b64 s[6:7], s[6:7]
	s_cbranch_execz .LBB4_5
; %bb.4:
	s_waitcnt vmcnt(0) lgkmcnt(0)
	v_lshrrev_b32_e32 v28, 1, v11
.LBB4_5:
	s_or_b64 exec, exec, s[6:7]
.LBB4_6:
	s_andn2_saveexec_b64 s[4:5], s[4:5]
	s_cbranch_execz .LBB4_8
; %bb.7:
	flat_load_dwordx2 v[2:3], v[52:53] offset:96
	s_waitcnt vmcnt(0) lgkmcnt(0)
	v_lshlrev_b64 v[28:29], 9, v[2:3]
.LBB4_8:
	s_or_b64 exec, exec, s[4:5]
	s_waitcnt vmcnt(0) lgkmcnt(0)
	flat_load_ushort v10, v[52:53] offset:8
	v_xad_u32 v2, v12, -1, v13
	v_ashrrev_i32_e32 v11, 31, v2
	v_mul_lo_u32 v7, v7, v2
	v_mad_u64_u32 v[2:3], s[4:5], v6, v2, v[4:5]
	v_mul_lo_u32 v4, v6, v11
	s_mov_b32 s4, 0
	v_add_co_u32_e32 v5, vcc, v2, v8
	v_add3_u32 v3, v7, v3, v4
	v_addc_co_u32_e32 v11, vcc, v3, v9, vcc
	v_sub_co_u32_e32 v4, vcc, 0, v5
	v_subb_co_u32_e32 v2, vcc, 0, v11, vcc
	v_and_b32_e32 v2, v11, v2
	v_cvt_f64_u32_e32 v[2:3], v2
	v_and_b32_e32 v4, v5, v4
	buffer_store_dword v5, off, s[0:3], s33 offset:128 ; 4-byte Folded Spill
	v_cvt_f64_u32_e32 v[4:5], v4
	v_ldexp_f64 v[2:3], v[2:3], 32
	s_mov_b32 s5, 0x40700000
	v_sub_u32_e32 v7, v1, v12
	v_sub_u32_e32 v1, 0, v7
	v_max_i32_e32 v14, v7, v1
	v_mov_b32_e32 v1, 0
	buffer_store_dword v11, off, s[0:3], s33 offset:132 ; 4-byte Folded Spill
                                        ; implicit-def: $vgpr24_vgpr25
	v_add_f64 v[4:5], v[2:3], v[4:5]
	v_min_f64 v[4:5], v[4:5], s[4:5]
	v_cvt_i32_f64_e32 v18, v[4:5]
	v_ashrrev_i32_e32 v19, 31, v18
	s_waitcnt vmcnt(0) lgkmcnt(0)
	v_lshrrev_b32_e32 v3, 1, v10
	v_lshlrev_b32_e32 v6, 1, v3
	v_sub_u32_e32 v2, 0, v6
	v_max_i32_e32 v8, v6, v2
	v_cvt_f32_u32_e32 v2, v8
	v_rcp_iflag_f32_e32 v2, v2
	v_mul_f32_e32 v2, 0x4f7ffffe, v2
	v_cvt_u32_f32_e32 v9, v2
	v_sub_u32_e32 v2, 0, v8
	v_mul_lo_u32 v2, v2, v9
	v_mul_hi_u32 v4, v9, v2
	v_or_b32_e32 v2, v11, v19
	v_cmp_ne_u64_e32 vcc, 0, v[1:2]
	v_add_u32_e32 v4, v9, v4
	s_and_saveexec_b64 s[4:5], vcc
	s_xor_b64 s[6:7], exec, s[4:5]
	s_cbranch_execz .LBB4_10
; %bb.9:
	v_cvt_f32_u32_e32 v1, v18
	v_cvt_f32_u32_e32 v2, v19
	v_sub_co_u32_e32 v15, vcc, 0, v18
	v_subb_co_u32_e32 v16, vcc, 0, v19, vcc
	v_madmk_f32 v1, v2, 0x4f800000, v1
	v_rcp_f32_e32 v1, v1
	v_mul_f32_e32 v1, 0x5f7ffffc, v1
	v_mul_f32_e32 v2, 0x2f800000, v1
	v_trunc_f32_e32 v2, v2
	v_madmk_f32 v1, v2, 0xcf800000, v1
	v_cvt_u32_f32_e32 v5, v2
	v_cvt_u32_f32_e32 v11, v1
	v_mul_lo_u32 v9, v15, v5
	v_mul_lo_u32 v10, v16, v11
	v_mad_u64_u32 v[1:2], s[4:5], v15, v11, 0
	v_add3_u32 v17, v2, v9, v10
	v_mul_hi_u32 v2, v11, v1
	v_mad_u64_u32 v[9:10], s[4:5], v11, v17, 0
	v_add_co_u32_e32 v20, vcc, v2, v9
	v_mad_u64_u32 v[1:2], s[4:5], v5, v1, 0
	v_addc_co_u32_e32 v21, vcc, 0, v10, vcc
	v_mad_u64_u32 v[9:10], s[4:5], v5, v17, 0
	v_add_co_u32_e32 v1, vcc, v20, v1
	v_addc_co_u32_e32 v1, vcc, v21, v2, vcc
	v_addc_co_u32_e32 v2, vcc, 0, v10, vcc
	v_add_co_u32_e32 v1, vcc, v1, v9
	v_addc_co_u32_e32 v2, vcc, 0, v2, vcc
	v_add_co_u32_e32 v11, vcc, v11, v1
	v_addc_co_u32_e32 v5, vcc, v5, v2, vcc
	v_mul_lo_u32 v9, v15, v5
	v_mul_lo_u32 v10, v16, v11
	v_mad_u64_u32 v[1:2], s[4:5], v15, v11, 0
	buffer_load_dword v20, off, s[0:3], s33 offset:132 ; 4-byte Folded Reload
	v_add3_u32 v2, v2, v9, v10
	v_mad_u64_u32 v[15:16], s[4:5], v11, v2, 0
	v_mul_hi_u32 v17, v11, v1
	v_mad_u64_u32 v[9:10], s[4:5], v5, v2, 0
	v_mad_u64_u32 v[1:2], s[4:5], v5, v1, 0
	v_add_co_u32_e32 v15, vcc, v17, v15
	v_addc_co_u32_e32 v16, vcc, 0, v16, vcc
	v_add_co_u32_e32 v1, vcc, v15, v1
	v_addc_co_u32_e32 v1, vcc, v16, v2, vcc
	buffer_load_dword v16, off, s[0:3], s33 offset:128 ; 4-byte Folded Reload
	v_addc_co_u32_e32 v2, vcc, 0, v10, vcc
	v_add_co_u32_e32 v1, vcc, v1, v9
	v_addc_co_u32_e32 v2, vcc, 0, v2, vcc
	v_add_co_u32_e32 v9, vcc, v11, v1
	v_addc_co_u32_e32 v5, vcc, v5, v2, vcc
	s_waitcnt vmcnt(0)
	v_mad_u64_u32 v[1:2], s[4:5], v16, v5, 0
	v_mul_hi_u32 v10, v16, v9
	v_add_co_u32_e32 v11, vcc, v10, v1
	v_addc_co_u32_e32 v15, vcc, 0, v2, vcc
	v_mad_u64_u32 v[1:2], s[4:5], v20, v9, 0
	v_mad_u64_u32 v[9:10], s[4:5], v20, v5, 0
	v_add_co_u32_e32 v1, vcc, v11, v1
	v_addc_co_u32_e32 v1, vcc, v15, v2, vcc
	v_addc_co_u32_e32 v2, vcc, 0, v10, vcc
	v_add_co_u32_e32 v5, vcc, v1, v9
	v_addc_co_u32_e32 v9, vcc, 0, v2, vcc
	v_mul_lo_u32 v10, v19, v5
	v_mul_lo_u32 v11, v18, v9
	v_mad_u64_u32 v[1:2], s[4:5], v18, v5, 0
	v_add3_u32 v2, v2, v11, v10
	v_sub_u32_e32 v10, v20, v2
	v_sub_co_u32_e32 v1, vcc, v16, v1
	v_subb_co_u32_e64 v10, s[4:5], v10, v19, vcc
	v_sub_co_u32_e64 v11, s[4:5], v1, v18
	v_subbrev_co_u32_e64 v10, s[4:5], 0, v10, s[4:5]
	v_cmp_ge_u32_e64 s[4:5], v10, v19
	v_cndmask_b32_e64 v15, 0, -1, s[4:5]
	v_cmp_ge_u32_e64 s[4:5], v11, v18
	v_cndmask_b32_e64 v11, 0, -1, s[4:5]
	v_cmp_eq_u32_e64 s[4:5], v10, v19
	v_cndmask_b32_e64 v10, v15, v11, s[4:5]
	v_add_co_u32_e64 v11, s[4:5], 2, v5
	v_addc_co_u32_e64 v15, s[4:5], 0, v9, s[4:5]
	v_add_co_u32_e64 v16, s[4:5], 1, v5
	v_addc_co_u32_e64 v17, s[4:5], 0, v9, s[4:5]
	v_subb_co_u32_e32 v2, vcc, v20, v2, vcc
	v_cmp_ne_u32_e64 s[4:5], 0, v10
	v_cmp_ge_u32_e32 vcc, v2, v19
	v_cndmask_b32_e64 v10, v17, v15, s[4:5]
	v_cndmask_b32_e64 v15, 0, -1, vcc
	v_cmp_ge_u32_e32 vcc, v1, v18
	v_cndmask_b32_e64 v1, 0, -1, vcc
	v_cmp_eq_u32_e32 vcc, v2, v19
	v_cndmask_b32_e32 v1, v15, v1, vcc
	v_cmp_ne_u32_e32 vcc, 0, v1
	v_cndmask_b32_e64 v1, v16, v11, s[4:5]
	v_cndmask_b32_e32 v25, v9, v10, vcc
	v_cndmask_b32_e32 v24, v5, v1, vcc
.LBB4_10:
	s_or_saveexec_b64 s[4:5], s[6:7]
	v_mad_u64_u32 v[4:5], s[6:7], v14, v4, 0
	s_xor_b64 exec, exec, s[4:5]
	s_cbranch_execz .LBB4_12
; %bb.11:
	buffer_load_dword v9, off, s[0:3], s33 offset:128 ; 4-byte Folded Reload
	v_cvt_f32_u32_e32 v1, v18
	v_sub_u32_e32 v2, 0, v18
	v_mov_b32_e32 v25, 0
	v_rcp_iflag_f32_e32 v1, v1
	v_mul_f32_e32 v1, 0x4f7ffffe, v1
	v_cvt_u32_f32_e32 v1, v1
	v_mul_lo_u32 v2, v2, v1
	v_mul_hi_u32 v2, v1, v2
	v_add_u32_e32 v1, v1, v2
	s_waitcnt vmcnt(0)
	v_mul_hi_u32 v1, v9, v1
	v_mul_lo_u32 v2, v1, v18
	v_add_u32_e32 v4, 1, v1
	v_sub_u32_e32 v2, v9, v2
	v_sub_u32_e32 v9, v2, v18
	v_cmp_ge_u32_e32 vcc, v2, v18
	v_cndmask_b32_e32 v2, v2, v9, vcc
	v_cndmask_b32_e32 v1, v1, v4, vcc
	v_add_u32_e32 v4, 1, v1
	v_cmp_ge_u32_e32 vcc, v2, v18
	v_cndmask_b32_e32 v24, v1, v4, vcc
.LBB4_12:
	s_or_b64 exec, exec, s[4:5]
	v_sub_u32_e32 v1, v13, v12
	v_add_u16_e32 v1, 1, v1
	v_lshrrev_b16_e32 v2, 15, v1
	v_add_u16_e32 v1, v1, v2
	v_ashrrev_i16_e32 v1, 1, v1
	v_bfe_i32 v15, v1, 0, 16
	v_ashrrev_i32_e32 v4, 31, v15
	v_or_b32_e32 v2, v25, v4
	v_mov_b32_e32 v1, 0
	v_cmp_ne_u64_e32 vcc, 0, v[1:2]
                                        ; implicit-def: $vgpr33_vgpr34
	s_and_saveexec_b64 s[4:5], vcc
	s_xor_b64 s[6:7], exec, s[4:5]
	s_cbranch_execz .LBB4_14
; %bb.13:
	v_ashrrev_i32_e32 v13, 31, v4
	v_add_co_u32_e32 v1, vcc, v15, v13
	v_addc_co_u32_e32 v2, vcc, v4, v13, vcc
	v_xor_b32_e32 v4, v2, v13
	v_xor_b32_e32 v16, v1, v13
	v_cvt_f32_u32_e32 v1, v16
	v_cvt_f32_u32_e32 v2, v4
	v_sub_co_u32_e32 v12, vcc, 0, v16
	v_subb_co_u32_e32 v17, vcc, 0, v4, vcc
	v_madmk_f32 v1, v2, 0x4f800000, v1
	v_rcp_f32_e32 v1, v1
	v_mul_f32_e32 v1, 0x5f7ffffc, v1
	v_mul_f32_e32 v2, 0x2f800000, v1
	v_trunc_f32_e32 v2, v2
	v_madmk_f32 v1, v2, 0xcf800000, v1
	v_cvt_u32_f32_e32 v11, v1
	v_cvt_u32_f32_e32 v20, v2
	v_mul_lo_u32 v9, v17, v11
	v_mad_u64_u32 v[1:2], s[4:5], v12, v11, 0
	v_mul_lo_u32 v10, v12, v20
	v_add3_u32 v21, v2, v10, v9
	v_mad_u64_u32 v[9:10], s[4:5], v11, v21, 0
	v_mul_hi_u32 v2, v11, v1
	v_add_co_u32_e32 v22, vcc, v2, v9
	v_mad_u64_u32 v[1:2], s[4:5], v20, v1, 0
	v_addc_co_u32_e32 v23, vcc, 0, v10, vcc
	v_mad_u64_u32 v[9:10], s[4:5], v20, v21, 0
	v_add_co_u32_e32 v1, vcc, v22, v1
	v_addc_co_u32_e32 v1, vcc, v23, v2, vcc
	v_addc_co_u32_e32 v2, vcc, 0, v10, vcc
	v_add_co_u32_e32 v1, vcc, v1, v9
	v_addc_co_u32_e32 v2, vcc, 0, v2, vcc
	v_add_co_u32_e32 v21, vcc, v11, v1
	v_addc_co_u32_e32 v20, vcc, v20, v2, vcc
	v_mul_lo_u32 v9, v12, v20
	v_mul_lo_u32 v10, v17, v21
	v_mad_u64_u32 v[1:2], s[4:5], v12, v21, 0
	v_add3_u32 v2, v2, v9, v10
	v_mad_u64_u32 v[11:12], s[4:5], v21, v2, 0
	v_mul_hi_u32 v17, v21, v1
	v_mad_u64_u32 v[9:10], s[4:5], v20, v2, 0
	v_mad_u64_u32 v[1:2], s[4:5], v20, v1, 0
	v_add_co_u32_e32 v11, vcc, v17, v11
	v_addc_co_u32_e32 v12, vcc, 0, v12, vcc
	v_add_co_u32_e32 v1, vcc, v11, v1
	v_addc_co_u32_e32 v1, vcc, v12, v2, vcc
	v_addc_co_u32_e32 v2, vcc, 0, v10, vcc
	v_add_co_u32_e32 v1, vcc, v1, v9
	v_addc_co_u32_e32 v2, vcc, 0, v2, vcc
	v_add_co_u32_e32 v9, vcc, v21, v1
	v_addc_co_u32_e32 v10, vcc, v20, v2, vcc
	v_ashrrev_i32_e32 v11, 31, v25
	v_add_co_u32_e32 v1, vcc, v24, v11
	v_xor_b32_e32 v17, v1, v11
	v_mad_u64_u32 v[1:2], s[4:5], v17, v10, 0
	v_mul_hi_u32 v20, v17, v9
	v_addc_co_u32_e32 v12, vcc, v25, v11, vcc
	v_xor_b32_e32 v12, v12, v11
	v_add_co_u32_e32 v20, vcc, v20, v1
	v_addc_co_u32_e32 v21, vcc, 0, v2, vcc
	v_mad_u64_u32 v[1:2], s[4:5], v12, v9, 0
	v_mad_u64_u32 v[9:10], s[4:5], v12, v10, 0
	v_add_co_u32_e32 v1, vcc, v20, v1
	v_addc_co_u32_e32 v1, vcc, v21, v2, vcc
	v_addc_co_u32_e32 v2, vcc, 0, v10, vcc
	v_add_co_u32_e32 v9, vcc, v1, v9
	v_addc_co_u32_e32 v10, vcc, 0, v2, vcc
	v_mul_lo_u32 v20, v4, v9
	v_mul_lo_u32 v21, v16, v10
	v_mad_u64_u32 v[1:2], s[4:5], v16, v9, 0
	v_add3_u32 v2, v2, v21, v20
	v_sub_u32_e32 v20, v12, v2
	v_sub_co_u32_e32 v1, vcc, v17, v1
	v_subb_co_u32_e64 v17, s[4:5], v20, v4, vcc
	v_sub_co_u32_e64 v20, s[4:5], v1, v16
	v_subbrev_co_u32_e64 v17, s[4:5], 0, v17, s[4:5]
	v_cmp_ge_u32_e64 s[4:5], v17, v4
	v_cndmask_b32_e64 v21, 0, -1, s[4:5]
	v_cmp_ge_u32_e64 s[4:5], v20, v16
	v_cndmask_b32_e64 v20, 0, -1, s[4:5]
	v_cmp_eq_u32_e64 s[4:5], v17, v4
	v_cndmask_b32_e64 v17, v21, v20, s[4:5]
	v_add_co_u32_e64 v20, s[4:5], 2, v9
	v_subb_co_u32_e32 v2, vcc, v12, v2, vcc
	v_addc_co_u32_e64 v21, s[4:5], 0, v10, s[4:5]
	v_cmp_ge_u32_e32 vcc, v2, v4
	v_add_co_u32_e64 v22, s[4:5], 1, v9
	v_cndmask_b32_e64 v12, 0, -1, vcc
	v_cmp_ge_u32_e32 vcc, v1, v16
	v_addc_co_u32_e64 v23, s[4:5], 0, v10, s[4:5]
	v_cndmask_b32_e64 v1, 0, -1, vcc
	v_cmp_eq_u32_e32 vcc, v2, v4
	v_cmp_ne_u32_e64 s[4:5], 0, v17
	v_cndmask_b32_e32 v1, v12, v1, vcc
	v_cmp_ne_u32_e32 vcc, 0, v1
	v_cndmask_b32_e64 v2, v22, v20, s[4:5]
	v_cndmask_b32_e64 v17, v23, v21, s[4:5]
	v_cndmask_b32_e32 v2, v9, v2, vcc
	v_xor_b32_e32 v4, v11, v13
	v_cndmask_b32_e32 v1, v10, v17, vcc
	v_xor_b32_e32 v2, v2, v4
	v_xor_b32_e32 v1, v1, v4
	v_sub_co_u32_e32 v33, vcc, v2, v4
	v_subb_co_u32_e32 v34, vcc, v1, v4, vcc
.LBB4_14:
	s_andn2_saveexec_b64 s[4:5], s[6:7]
	s_cbranch_execz .LBB4_16
; %bb.15:
	v_cvt_f32_u32_e32 v1, v15
	v_sub_u32_e32 v2, 0, v15
	v_mov_b32_e32 v34, 0
	v_rcp_iflag_f32_e32 v1, v1
	v_mul_f32_e32 v1, 0x4f7ffffe, v1
	v_cvt_u32_f32_e32 v1, v1
	v_mul_lo_u32 v2, v2, v1
	v_mul_hi_u32 v2, v1, v2
	v_add_u32_e32 v1, v1, v2
	v_mul_hi_u32 v1, v24, v1
	v_mul_lo_u32 v2, v1, v15
	v_add_u32_e32 v4, 1, v1
	v_sub_u32_e32 v2, v24, v2
	v_sub_u32_e32 v9, v2, v15
	v_cmp_ge_u32_e32 vcc, v2, v15
	v_cndmask_b32_e32 v2, v2, v9, vcc
	v_cndmask_b32_e32 v1, v1, v4, vcc
	v_add_u32_e32 v4, 1, v1
	v_cmp_ge_u32_e32 vcc, v2, v15
	v_cndmask_b32_e32 v33, v1, v4, vcc
.LBB4_16:
	s_or_b64 exec, exec, s[4:5]
	s_trap 2
	ds_read_b64 v[1:2], v0
	v_mul_lo_u32 v4, v5, v8
	v_sub_u32_e32 v4, v14, v4
	s_waitcnt lgkmcnt(0)
	v_cmp_ne_u32_e32 vcc, -1, v1
	v_cndmask_b32_e64 v27, 0, 1, vcc
	v_cmp_ne_u32_e32 vcc, -1, v2
	buffer_load_dword v2, off, s[0:3], s33 offset:168 ; 4-byte Folded Reload
	v_sub_u32_e32 v9, v4, v8
	v_cmp_ge_u32_e64 s[4:5], v4, v8
	v_cndmask_b32_e64 v4, v4, v9, s[4:5]
	v_cmp_ge_u32_e64 s[6:7], v4, v8
	v_addc_co_u32_e64 v4, s[10:11], 0, v27, vcc
	v_lshlrev_b32_e32 v1, 1, v4
	s_waitcnt vmcnt(0)
	v_cmp_le_u32_e64 s[10:11], v1, v2
	s_and_saveexec_b64 s[14:15], s[10:11]
	s_xor_b64 s[24:25], exec, s[14:15]
	s_cbranch_execz .LBB4_649
; %bb.17:
	flat_load_dwordx4 v[8:11], v[52:53] offset:16
	s_trap 2
	s_load_dword s10, s[8:9], 0x0
	v_mov_b32_e32 v1, 0
	v_add_u32_e32 v13, 1, v5
	v_cndmask_b32_e64 v5, v5, v13, s[4:5]
	v_sub_u32_e32 v2, 0, v3
	s_waitcnt lgkmcnt(0)
	s_cmp_lt_u32 s12, s10
	s_cselect_b32 s10, 12, 18
	s_add_u32 s10, s8, s10
	s_addc_u32 s11, s9, 0
	global_load_ushort v1, v1, s[10:11]
	v_ashrrev_i32_e32 v31, 31, v7
	v_bfe_i32 v12, v3, 30, 1
	v_add_u32_e32 v13, 1, v5
	v_xor_b32_e32 v12, v31, v12
	v_cndmask_b32_e64 v5, v5, v13, s[6:7]
	v_xor_b32_e32 v5, v5, v12
	v_sub_u32_e32 v32, v5, v12
	v_mul_lo_u32 v6, v32, v6
	ds_read_b32 v12, v0
	v_cmp_ge_i32_e64 s[4:5], v0, v27
	v_mov_b32_e32 v13, 4
	v_sub_u32_e32 v36, v7, v6
	v_sub_u32_e32 v6, 0, v36
	s_waitcnt lgkmcnt(0)
	v_readfirstlane_b32 s12, v12
	s_waitcnt vmcnt(0)
	buffer_store_dword v1, off, s[0:3], s33 offset:192 ; 4-byte Folded Spill
	v_cvt_f32_u32_e32 v1, v3
	v_rcp_iflag_f32_e32 v1, v1
	v_mul_f32_e32 v1, 0x4f7ffffe, v1
	v_cvt_u32_f32_e32 v1, v1
	v_mul_lo_u32 v2, v2, v1
	v_mul_hi_u32 v2, v1, v2
	v_add_u32_e32 v5, v1, v2
	s_and_saveexec_b64 s[6:7], s[4:5]
	s_cbranch_execz .LBB4_27
; %bb.18:
	v_cmp_ge_u32_e64 s[4:5], v0, v4
                                        ; implicit-def: $vgpr13
	s_and_saveexec_b64 s[10:11], s[4:5]
	s_xor_b64 s[4:5], exec, s[10:11]
	s_cbranch_execz .LBB4_24
; %bb.19:
	buffer_load_dword v2, off, s[0:3], s33 offset:168 ; 4-byte Folded Reload
	v_cndmask_b32_e64 v1, 0, 1, vcc
	s_waitcnt vmcnt(0)
	v_sub_u32_e32 v1, v2, v1
	v_cmp_ge_u32_e32 vcc, v0, v1
	s_and_saveexec_b64 s[10:11], vcc
	s_xor_b64 s[10:11], exec, s[10:11]
; %bb.20:
                                        ; implicit-def: $vgpr4
; %bb.21:
	s_or_saveexec_b64 s[10:11], s[10:11]
	v_mov_b32_e32 v13, 16
	s_xor_b64 exec, exec, s[10:11]
	s_cbranch_execz .LBB4_23
; %bb.22:
	buffer_load_dword v1, off, s[0:3], s33 offset:168 ; 4-byte Folded Reload
	s_waitcnt vmcnt(0)
	v_sub_u32_e32 v1, v1, v4
	v_cmp_lt_i32_e32 vcc, v0, v1
	v_cndmask_b32_e64 v13, 32, 0, vcc
.LBB4_23:
	s_or_b64 exec, exec, s[10:11]
.LBB4_24:
	s_andn2_saveexec_b64 s[4:5], s[4:5]
; %bb.25:
	v_mov_b32_e32 v13, 8
; %bb.26:
	s_or_b64 exec, exec, s[4:5]
.LBB4_27:
	s_or_b64 exec, exec, s[6:7]
	v_and_b32_e32 v1, 36, v13
	v_max_i32_e32 v35, v36, v6
	v_cmp_ne_u32_e32 vcc, 0, v1
	v_mov_b32_e32 v6, -1
	s_and_saveexec_b64 s[4:5], vcc
	s_cbranch_execz .LBB4_29
; %bb.28:
	s_trap 2
	ds_read_b32 v6, v0
.LBB4_29:
	s_or_b64 exec, exec, s[4:5]
	v_mad_u64_u32 v[25:26], s[4:5], v14, v5, 0
	v_mad_u64_u32 v[29:30], s[4:5], v35, v5, 0
	v_and_b32_e32 v1, 24, v13
	v_cmp_ne_u32_e64 s[4:5], 0, v1
	s_and_saveexec_b64 s[6:7], s[4:5]
	s_cbranch_execz .LBB4_31
; %bb.30:
	s_trap 2
	s_waitcnt lgkmcnt(0)
	ds_read_b32 v6, v0
.LBB4_31:
	s_or_b64 exec, exec, s[6:7]
	v_mov_b32_e32 v1, 0
	v_mov_b32_e32 v2, 0
	;; [unrolled: 1-line block ×3, first 2 shown]
	buffer_store_dword v1, off, s[0:3], s33 offset:180 ; 4-byte Folded Spill
	s_nop 0
	buffer_store_dword v2, off, s[0:3], s33 offset:184 ; 4-byte Folded Spill
	v_mov_b32_e32 v60, 0
	s_waitcnt lgkmcnt(0)
	v_ashrrev_i32_e32 v7, 31, v6
                                        ; implicit-def: $vgpr1_vgpr2
                                        ; kill: killed $vgpr1_vgpr2
                                        ; implicit-def: $vgpr12
                                        ; implicit-def: $vgpr22_vgpr23
                                        ; implicit-def: $vgpr48_vgpr49
                                        ; implicit-def: $vgpr50_vgpr51
                                        ; implicit-def: $vgpr16_vgpr17
	s_and_saveexec_b64 s[4:5], vcc
	s_cbranch_execz .LBB4_41
; %bb.32:
	s_trap 2
	ds_read_b64 v[1:2], v0
	v_lshlrev_b64 v[4:5], 3, v[6:7]
	s_waitcnt lgkmcnt(0)
	v_add_co_u32_e32 v1, vcc, v1, v4
	v_addc_co_u32_e32 v2, vcc, v2, v5, vcc
	flat_load_dwordx2 v[20:21], v[1:2]
	s_waitcnt vmcnt(0) lgkmcnt(0)
	flat_load_dword v1, v[20:21] offset:640
	s_waitcnt vmcnt(0) lgkmcnt(0)
	v_cmp_eq_u32_e32 vcc, 1, v1
                                        ; implicit-def: $vgpr1_vgpr2
                                        ; kill: killed $vgpr1_vgpr2
	s_and_saveexec_b64 s[6:7], vcc
	s_cbranch_execz .LBB4_34
; %bb.33:
	flat_load_dwordx2 v[4:5], v[20:21] offset:648
	v_or_b32_e32 v13, 0x2000, v13
	s_waitcnt vmcnt(0) lgkmcnt(0)
	flat_load_dwordx2 v[1:2], v[4:5]
	s_trap 2
	s_waitcnt vmcnt(0) lgkmcnt(0)
	ds_write_b64 v0, v[1:2]
	flat_load_dwordx2 v[1:2], v[4:5] offset:8
	s_waitcnt vmcnt(0) lgkmcnt(0)
	ds_write_b64 v0, v[1:2]
	buffer_store_dword v4, off, s[0:3], s33 offset:220 ; 4-byte Folded Spill
	s_nop 0
	buffer_store_dword v5, off, s[0:3], s33 offset:224 ; 4-byte Folded Spill
	flat_load_dwordx2 v[1:2], v[4:5] offset:16
	s_waitcnt vmcnt(0) lgkmcnt(0)
	ds_write_b64 v0, v[1:2]
.LBB4_34:
	s_or_b64 exec, exec, s[6:7]
	flat_load_dwordx2 v[1:2], v[20:21] offset:608
	v_and_b32_e32 v4, 32, v13
                                        ; implicit-def: $vgpr16_vgpr17
	s_waitcnt vmcnt(0) lgkmcnt(0)
	v_add_co_u32_e32 v1, vcc, 3, v1
	v_addc_co_u32_e32 v49, vcc, 0, v2, vcc
	v_and_b32_e32 v48, -4, v1
	v_cmp_ne_u32_e32 vcc, 0, v4
	s_and_saveexec_b64 s[6:7], vcc
	s_cbranch_execz .LBB4_36
; %bb.35:
	flat_load_dwordx2 v[16:17], v[20:21] offset:560
	s_waitcnt vmcnt(0) lgkmcnt(0)
	flat_store_dwordx2 v[16:17], v[48:49]
.LBB4_36:
	s_or_b64 exec, exec, s[6:7]
	v_add_co_u32_e32 v1, vcc, 0x1f8, v20
	v_addc_co_u32_e32 v2, vcc, 0, v21, vcc
	buffer_store_dword v1, off, s[0:3], s33 offset:180 ; 4-byte Folded Spill
	s_nop 0
	buffer_store_dword v2, off, s[0:3], s33 offset:184 ; 4-byte Folded Spill
	v_and_b32_e32 v1, 4, v13
	v_mov_b32_e32 v59, 0
	v_mov_b32_e32 v60, 0
	v_cmp_ne_u32_e32 vcc, 0, v1
                                        ; implicit-def: $vgpr12
                                        ; implicit-def: $vgpr22_vgpr23
                                        ; implicit-def: $vgpr50_vgpr51
	s_and_saveexec_b64 s[6:7], vcc
	s_cbranch_execz .LBB4_40
; %bb.37:
	v_and_b32_e32 v1, 0x800, v13
	v_cmp_eq_u32_e32 vcc, 0, v1
	s_and_saveexec_b64 s[10:11], vcc
	s_cbranch_execz .LBB4_39
; %bb.38:
	s_trap 2
	buffer_load_dword v1, off, s[0:3], s33 offset:180 ; 4-byte Folded Reload
	buffer_load_dword v2, off, s[0:3], s33 offset:184 ; 4-byte Folded Reload
	s_waitcnt vmcnt(0)
	ds_write_b64 v0, v[1:2]
.LBB4_39:
	s_or_b64 exec, exec, s[10:11]
	flat_load_dwordx2 v[16:17], v[20:21] offset:552
	v_or_b32_e32 v1, 0x100, v13
	s_waitcnt vmcnt(0) lgkmcnt(0)
	flat_load_dwordx2 v[22:23], v[16:17] glc
	flat_load_dwordx2 v[59:60], v[20:21] offset:600
	flat_load_dword v12, v[20:21] offset:576
	flat_load_dwordx2 v[50:51], v[20:21] offset:520
	s_waitcnt vmcnt(0) lgkmcnt(0)
	v_cmp_eq_u64_e32 vcc, 0, v[59:60]
	v_cndmask_b32_e32 v13, v1, v13, vcc
.LBB4_40:
	s_or_b64 exec, exec, s[6:7]
.LBB4_41:
	s_or_b64 exec, exec, s[4:5]
	v_and_b32_e32 v1, 24, v13
	v_ashrrev_i32_e32 v25, 31, v36
	v_cmp_ne_u32_e32 vcc, 0, v1
                                        ; implicit-def: $vgpr1_vgpr2
	s_and_saveexec_b64 s[4:5], vcc
	s_cbranch_execz .LBB4_49
; %bb.42:
	s_trap 2
	ds_read_b64 v[1:2], v0
	v_lshlrev_b64 v[4:5], 3, v[6:7]
	s_waitcnt lgkmcnt(0)
	v_add_co_u32_e32 v1, vcc, v1, v4
	v_addc_co_u32_e32 v2, vcc, v2, v5, vcc
	flat_load_dwordx2 v[1:2], v[1:2]
	s_waitcnt vmcnt(0) lgkmcnt(0)
	buffer_store_dword v1, off, s[0:3], s33 offset:180 ; 4-byte Folded Spill
	s_nop 0
	buffer_store_dword v2, off, s[0:3], s33 offset:184 ; 4-byte Folded Spill
	flat_load_dwordx4 v[59:62], v[1:2] offset:96
	v_or_b32_e32 v1, 0x100, v13
	s_waitcnt vmcnt(0) lgkmcnt(0)
	v_cmp_eq_u64_e32 vcc, 0, v[59:60]
	v_cndmask_b32_e32 v13, v1, v13, vcc
	v_and_b32_e32 v1, 16, v13
	v_cmp_ne_u32_e32 vcc, 0, v1
                                        ; implicit-def: $vgpr1_vgpr2
	s_and_saveexec_b64 s[6:7], vcc
	s_cbranch_execz .LBB4_44
; %bb.43:
	buffer_load_dword v4, off, s[0:3], s33 offset:180 ; 4-byte Folded Reload
	buffer_load_dword v5, off, s[0:3], s33 offset:184 ; 4-byte Folded Reload
	s_waitcnt vmcnt(0)
	flat_load_dwordx2 v[16:17], v[4:5] offset:48
	flat_load_dwordx2 v[1:2], v[4:5] offset:120
	;; [unrolled: 1-line block ×3, first 2 shown]
.LBB4_44:
	s_or_b64 exec, exec, s[6:7]
	v_add_co_u32_e32 v4, vcc, 3, v61
	v_addc_co_u32_e32 v49, vcc, 0, v62, vcc
	v_and_b32_e32 v48, -4, v4
	v_and_b32_e32 v4, 8, v13
	v_cmp_ne_u32_e32 vcc, 0, v4
	s_and_saveexec_b64 s[6:7], vcc
	s_cbranch_execz .LBB4_48
; %bb.45:
	v_and_b32_e32 v4, 0x800, v13
	v_cmp_eq_u32_e32 vcc, 0, v4
	s_and_saveexec_b64 s[10:11], vcc
	s_cbranch_execz .LBB4_47
; %bb.46:
	s_trap 2
	buffer_load_dword v4, off, s[0:3], s33 offset:180 ; 4-byte Folded Reload
	buffer_load_dword v5, off, s[0:3], s33 offset:184 ; 4-byte Folded Reload
	s_waitcnt vmcnt(0)
	ds_write_b64 v0, v[4:5]
.LBB4_47:
	s_or_b64 exec, exec, s[10:11]
	buffer_load_dword v4, off, s[0:3], s33 offset:180 ; 4-byte Folded Reload
	buffer_load_dword v5, off, s[0:3], s33 offset:184 ; 4-byte Folded Reload
	s_waitcnt vmcnt(0) lgkmcnt(0)
	flat_load_dwordx2 v[16:17], v[4:5] offset:56
	s_waitcnt vmcnt(0) lgkmcnt(0)
	flat_load_dwordx2 v[22:23], v[16:17] glc
	flat_load_dword v12, v[4:5] offset:72
	flat_load_dwordx2 v[50:51], v[4:5] offset:16
.LBB4_48:
	s_or_b64 exec, exec, s[6:7]
.LBB4_49:
	s_or_b64 exec, exec, s[4:5]
	v_cmp_eq_u32_e64 s[4:5], 0, v0
	s_and_saveexec_b64 s[6:7], s[4:5]
	s_cbranch_execz .LBB4_51
; %bb.50:
	v_mov_b32_e32 v4, v10
	v_mov_b32_e32 v5, v11
	;; [unrolled: 1-line block ×4, first 2 shown]
	ds_write2_b64 v0, v[4:5], v[6:7] offset1:1
	v_mov_b32_e32 v4, 0
	v_mov_b32_e32 v5, v4
	s_trap 2
	ds_write_b64 v0, v[4:5]
.LBB4_51:
	s_or_b64 exec, exec, s[6:7]
	buffer_load_dword v8, off, s[0:3], s33 offset:168 ; 4-byte Folded Reload
	v_mov_b32_e32 v10, 0
	v_mov_b32_e32 v11, 0
	s_mov_b32 s49, -1
	s_cmp_lt_i32 s48, -1
	s_waitcnt vmcnt(0)
	v_cmp_ne_u32_e64 s[6:7], 64, v8
	s_cbranch_scc1 .LBB4_615
; %bb.52:
	v_mul_lo_u32 v4, v26, v3
	buffer_store_dword v59, off, s[0:3], s33 offset:60 ; 4-byte Folded Spill
	s_nop 0
	buffer_store_dword v60, off, s[0:3], s33 offset:64 ; 4-byte Folded Spill
	buffer_store_dword v61, off, s[0:3], s33 offset:68 ; 4-byte Folded Spill
	;; [unrolled: 1-line block ×3, first 2 shown]
	s_ashr_i32 s13, s12, 31
	s_lshr_b32 s13, s13, 25
	v_sub_u32_e32 v4, v14, v4
	v_sub_u32_e32 v5, v4, v3
	v_cmp_ge_u32_e32 vcc, v4, v3
	v_cndmask_b32_e32 v4, v4, v5, vcc
	v_sub_u32_e32 v5, v4, v3
	v_cmp_ge_u32_e32 vcc, v4, v3
	v_cndmask_b32_e32 v4, v4, v5, vcc
	v_mad_u64_u32 v[5:6], s[10:11], v33, v15, 0
	v_xor_b32_e32 v4, v4, v31
	v_sub_u32_e32 v4, v4, v31
	v_mad_u64_u32 v[6:7], s[10:11], v32, v3, v[4:5]
	v_sub_co_u32_e32 v8, vcc, v24, v5
	v_min_i32_e32 v4, v6, v8
	v_ashrrev_i32_e32 v5, 31, v4
	v_mad_u64_u32 v[4:5], s[10:11], v33, v6, v[4:5]
	v_ashrrev_i32_e32 v7, 31, v6
	v_mul_lo_u32 v24, v33, v7
	v_mul_lo_u32 v26, v34, v6
	v_cmp_lt_i32_e32 vcc, v6, v8
	v_mul_lo_u32 v9, v4, v19
	v_mad_u64_u32 v[14:15], s[10:11], v4, v18, 0
	v_cndmask_b32_e64 v4, 0, 1, vcc
	v_add_co_u32_e32 v4, vcc, v33, v4
	v_add3_u32 v5, v26, v5, v24
	v_mul_lo_u32 v11, v4, v19
	v_mad_u64_u32 v[36:37], s[10:11], v4, v18, 0
	v_mul_lo_u32 v4, v30, v3
	v_mul_lo_u32 v5, v5, v18
	v_addc_co_u32_e32 v10, vcc, 0, v34, vcc
	v_sub_u32_e32 v4, v35, v4
	v_add3_u32 v15, v15, v9, v5
	v_add_u32_e32 v5, 1, v30
	v_cmp_ge_u32_e32 vcc, v4, v3
	v_sub_u32_e32 v9, v4, v3
	v_cndmask_b32_e32 v5, v30, v5, vcc
	v_cndmask_b32_e32 v4, v4, v9, vcc
	v_mul_lo_u32 v10, v10, v18
	v_add_u32_e32 v9, 1, v5
	v_cmp_ge_u32_e32 vcc, v4, v3
	v_cndmask_b32_e32 v3, v5, v9, vcc
	v_xor_b32_e32 v3, v3, v25
	v_sub_u32_e32 v20, v3, v25
	v_add3_u32 v37, v37, v11, v10
	v_ashrrev_i32_e32 v3, 31, v20
	v_mul_lo_u32 v5, v37, v20
	v_mul_lo_u32 v9, v36, v3
	v_mad_u64_u32 v[3:4], s[10:11], v36, v20, 0
	buffer_store_dword v14, off, s[0:3], s33 offset:136 ; 4-byte Folded Spill
	s_nop 0
	buffer_store_dword v15, off, s[0:3], s33 offset:140 ; 4-byte Folded Spill
	s_add_i32 s12, s12, s13
	v_add3_u32 v4, v4, v9, v5
	v_lshrrev_b32_e32 v5, 31, v4
	v_add_co_u32_e32 v3, vcc, v3, v5
	v_addc_co_u32_e32 v4, vcc, 0, v4, vcc
	v_ashrrev_i64 v[3:4], 1, v[3:4]
	buffer_store_dword v3, off, s[0:3], s33 offset:152 ; 4-byte Folded Spill
	s_nop 0
	buffer_store_dword v4, off, s[0:3], s33 offset:156 ; 4-byte Folded Spill
	v_lshrrev_b32_e32 v3, 31, v37
	v_add_co_u32_e32 v3, vcc, v36, v3
	v_addc_co_u32_e32 v4, vcc, 0, v37, vcc
	v_ashrrev_i64 v[4:5], 1, v[3:4]
	v_ashrrev_i32_e32 v3, 31, v0
	v_lshrrev_b32_e32 v3, 26, v3
	v_sub_co_u32_e32 v21, vcc, v36, v4
	buffer_store_dword v36, off, s[0:3], s33 offset:144 ; 4-byte Folded Spill
	s_nop 0
	buffer_store_dword v37, off, s[0:3], s33 offset:148 ; 4-byte Folded Spill
	v_add_u32_e32 v3, v0, v3
	v_ashrrev_i32_e32 v36, 6, v3
	v_and_b32_e32 v3, 0xffffffc0, v3
	v_sub_u32_e32 v11, v0, v3
	v_lshlrev_b32_e32 v3, 4, v11
	v_lshl_add_u32 v38, v36, 12, v3
	buffer_load_dword v3, off, s[0:3], s33 offset:168 ; 4-byte Folded Reload
	buffer_load_dword v9, off, s[0:3], s33 offset:168 ; 4-byte Folded Reload
	s_ashr_i32 s51, s12, 7
	s_abs_i32 s52, s48
	v_cmp_lt_i32_e64 s[16:17], v11, v27
	v_cvt_f32_u32_e32 v27, s52
	v_cmp_eq_u32_e64 s[22:23], 0, v20
	v_cndmask_b32_e64 v4, v21, v4, s[22:23]
	s_lshr_b32 s10, s48, 31
	s_sub_i32 s26, 0, s52
	s_add_i32 s10, s48, s10
	s_mov_b32 s27, 0
	v_mov_b32_e32 v32, 0
	s_ashr_i32 s50, s10, 1
	v_cmp_gt_i32_e64 s[10:11], 1, v11
	s_waitcnt lgkmcnt(0)
	v_cmp_ne_u64_e64 s[20:21], 0, v[1:2]
	v_and_b32_e32 v28, 0x3ffffe00, v28
	v_mov_b32_e32 v29, v32
	v_ashrrev_i32_e32 v39, 31, v38
	v_mov_b32_e32 v31, 1
	s_movk_i32 s54, 0x108
	v_mov_b32_e32 v30, 0xc8
	v_mov_b32_e32 v35, 0x88
	v_subb_co_u32_e32 v25, vcc, v37, v5, vcc
	v_cndmask_b32_e64 v5, v25, v5, s[22:23]
	v_ashrrev_i32_e32 v37, 31, v36
	s_waitcnt vmcnt(1)
	v_lshrrev_b32_e32 v14, 6, v3
	buffer_load_dword v3, off, s[0:3], s33 offset:168 ; 4-byte Folded Reload
	s_waitcnt vmcnt(1)
	v_cmp_ge_i32_e32 vcc, v0, v9
	buffer_load_dword v9, off, s[0:3], s33 offset:188 ; 4-byte Folded Reload
	s_trap 2
	v_lshlrev_b32_e32 v15, 12, v14
	v_lshlrev_b32_e32 v34, 10, v14
	s_waitcnt vmcnt(1)
	v_and_b32_e32 v3, 0x3fc0, v3
	s_waitcnt vmcnt(0)
	v_and_b32_e32 v9, 63, v9
	v_cmp_eq_u32_e64 s[12:13], 0, v9
	buffer_load_dword v9, off, s[0:3], s33 offset:168 ; 4-byte Folded Reload
	s_waitcnt vmcnt(0)
	v_cmp_eq_u32_e64 s[14:15], 64, v9
	buffer_load_dword v9, off, s[0:3], s33 offset:168 ; 4-byte Folded Reload
	buffer_load_dword v10, off, s[0:3], s33 offset:192 ; 4-byte Folded Reload
	s_waitcnt vmcnt(0)
	v_cmp_ne_u32_sdwa s[28:29], v9, v10 src0_sel:DWORD src1_sel:WORD_0
	v_ashrrev_i32_e32 v9, 31, v8
	v_cmp_lt_i64_e64 s[18:19], v[6:7], v[8:9]
	buffer_store_dword v5, off, s[0:3], s33 offset:160 ; 4-byte Folded Spill
	v_cndmask_b32_e64 v9, v9, v7, s[18:19]
	v_rcp_iflag_f32_e32 v7, v27
	v_cndmask_b32_e64 v8, v8, v6, s[18:19]
	buffer_store_dword v4, off, s[0:3], s33 offset:164 ; 4-byte Folded Spill
	buffer_store_dword v11, off, s[0:3], s33 offset:76 ; 4-byte Folded Spill
	v_mul_f32_e32 v5, 0x4f7ffffe, v7
	v_cvt_u32_f32_e32 v7, v5
	v_mad_u64_u32 v[5:6], s[40:41], v33, v6, v[8:9]
	buffer_load_dword v8, off, s[0:3], s33 offset:168 ; 4-byte Folded Reload
	v_readfirstlane_b32 s40, v7
	v_add3_u32 v4, v26, v6, v24
	v_mul_lo_u32 v6, v5, v19
	v_mul_lo_u32 v4, v4, v18
	v_mad_u64_u32 v[18:19], s[22:23], v5, v18, 0
	s_mul_i32 s26, s26, s40
	v_mov_b32_e32 v10, 0
	v_cmp_eq_u64_e64 s[18:19], 0, v[1:2]
	s_mul_hi_u32 s22, s40, s26
	v_mov_b32_e32 v11, 0
	s_add_i32 s53, s40, s22
	v_add3_u32 v19, v19, v6, v4
	s_xor_b64 s[40:41], vcc, -1
	s_mov_b32 s26, s27
	buffer_store_dword v18, off, s[0:3], s33 offset:212 ; 4-byte Folded Spill
	s_nop 0
	buffer_store_dword v19, off, s[0:3], s33 offset:216 ; 4-byte Folded Spill
	buffer_store_dword v52, off, s[0:3], s33 offset:172 ; 4-byte Folded Spill
	s_nop 0
	buffer_store_dword v53, off, s[0:3], s33 offset:176 ; 4-byte Folded Spill
	;; [unrolled: 3-line block ×3, first 2 shown]
.LBB4_53:                               ; =>This Loop Header: Depth=1
                                        ;     Child Loop BB4_61 Depth 2
                                        ;     Child Loop BB4_68 Depth 2
	;; [unrolled: 1-line block ×5, first 2 shown]
                                        ;       Child Loop BB4_93 Depth 3
                                        ;         Child Loop BB4_101 Depth 4
                                        ;         Child Loop BB4_125 Depth 4
	;; [unrolled: 1-line block ×8, first 2 shown]
                                        ;       Child Loop BB4_213 Depth 3
                                        ;         Child Loop BB4_219 Depth 4
                                        ;         Child Loop BB4_243 Depth 4
                                        ;       Child Loop BB4_265 Depth 3
                                        ;         Child Loop BB4_268 Depth 4
                                        ;           Child Loop BB4_276 Depth 5
                                        ;           Child Loop BB4_304 Depth 5
	;; [unrolled: 1-line block ×8, first 2 shown]
                                        ;         Child Loop BB4_393 Depth 4
                                        ;           Child Loop BB4_399 Depth 5
                                        ;           Child Loop BB4_427 Depth 5
                                        ;       Child Loop BB4_447 Depth 3
                                        ;         Child Loop BB4_455 Depth 4
                                        ;         Child Loop BB4_479 Depth 4
	;; [unrolled: 1-line block ×8, first 2 shown]
                                        ;       Child Loop BB4_566 Depth 3
                                        ;         Child Loop BB4_572 Depth 4
                                        ;         Child Loop BB4_596 Depth 4
	s_sub_i32 s22, s48, s26
	s_ashr_i32 s23, s22, 31
	s_abs_i32 s22, s22
	s_mul_hi_u32 s42, s22, s53
	s_mul_i32 s42, s42, s52
	s_sub_i32 s22, s22, s42
	s_sub_i32 s42, s22, s52
	s_cmp_ge_u32 s22, s52
	s_cselect_b32 s22, s42, s22
	s_sub_i32 s42, s22, s52
	s_cmp_ge_u32 s22, s52
	s_trap 2
	s_waitcnt vmcnt(0)
	ds_read_b64 v[4:5], v0
	s_cselect_b32 s22, s42, s22
	s_xor_b32 s22, s22, s23
	s_sub_i32 s22, s22, s23
	s_ashr_i32 s23, s22, 31
	s_lshl_b64 s[22:23], s[22:23], 2
	s_waitcnt lgkmcnt(0)
	v_add_co_u32_e32 v6, vcc, s22, v4
	v_mov_b32_e32 v7, s23
	v_addc_co_u32_e32 v7, vcc, v5, v7, vcc
	s_lshl_b64 s[22:23], s[26:27], 2
	flat_load_dword v6, v[6:7]
	v_add_co_u32_e32 v4, vcc, s22, v4
	v_mov_b32_e32 v7, s23
	v_addc_co_u32_e32 v5, vcc, v5, v7, vcc
	flat_load_dword v4, v[4:5]
	s_cmp_lg_u32 s26, 0
	buffer_load_dword v9, off, s[0:3], s33 offset:128 ; 4-byte Folded Reload
	buffer_load_dword v18, off, s[0:3], s33 offset:132 ; 4-byte Folded Reload
	;; [unrolled: 1-line block ×6, first 2 shown]
	s_waitcnt vmcnt(0) lgkmcnt(0)
	v_ashrrev_i32_e32 v5, 31, v4
	v_mul_lo_u32 v5, v9, v5
	v_mul_lo_u32 v7, v18, v4
	v_mad_u64_u32 v[54:55], s[22:23], v9, v4, 0
	v_add3_u32 v55, v55, v5, v7
	v_add_co_u32_e32 v5, vcc, v54, v19
	v_addc_co_u32_e32 v7, vcc, v55, v20, vcc
	v_cmp_eq_u32_e32 vcc, v6, v4
	v_cndmask_b32_e32 v24, 0, v24, vcc
	v_cndmask_b32_e32 v33, 0, v25, vcc
	v_add_co_u32_e64 v4, s[22:23], v5, v24
	buffer_store_dword v4, off, s[0:3], s33 offset:96 ; 4-byte Folded Spill
	v_addc_co_u32_e64 v4, s[22:23], v7, v33, s[22:23]
	buffer_store_dword v4, off, s[0:3], s33 offset:100 ; 4-byte Folded Spill
	v_ashrrev_i32_e32 v4, 31, v6
	v_mul_lo_u32 v4, v9, v4
	v_mul_lo_u32 v5, v18, v6
	v_mad_u64_u32 v[61:62], s[22:23], v9, v6, 0
	v_add3_u32 v62, v62, v4, v5
	v_add_co_u32_e64 v4, s[22:23], v61, v19
	v_addc_co_u32_e64 v5, s[22:23], v62, v20, s[22:23]
	v_add_co_u32_e64 v4, s[22:23], v4, v24
	buffer_store_dword v4, off, s[0:3], s33 offset:112 ; 4-byte Folded Spill
	v_addc_co_u32_e64 v4, s[22:23], v5, v33, s[22:23]
	buffer_store_dword v4, off, s[0:3], s33 offset:116 ; 4-byte Folded Spill
	buffer_load_dword v4, off, s[0:3], s33 offset:144 ; 4-byte Folded Reload
	s_nop 0
	buffer_load_dword v5, off, s[0:3], s33 offset:148 ; 4-byte Folded Reload
	buffer_load_dword v6, off, s[0:3], s33 offset:160 ; 4-byte Folded Reload
	s_cselect_b64 s[22:23], -1, 0
	s_waitcnt vmcnt(0)
	v_cndmask_b32_e32 v43, v5, v6, vcc
	buffer_load_dword v5, off, s[0:3], s33 offset:164 ; 4-byte Folded Reload
	s_waitcnt vmcnt(0)
	v_cndmask_b32_e32 v42, v4, v5, vcc
	s_and_b64 vcc, exec, s[22:23]
	buffer_store_dword v42, off, s[0:3], s33 offset:104 ; 4-byte Folded Spill
	s_nop 0
	buffer_store_dword v43, off, s[0:3], s33 offset:108 ; 4-byte Folded Spill
	s_cbranch_vccnz .LBB4_84
; %bb.54:                               ;   in Loop: Header=BB4_53 Depth=1
	flat_load_dwordx4 v[18:21], v[52:53] offset:16
	s_mov_b64 s[22:23], -1
	s_waitcnt vmcnt(0) lgkmcnt(0)
	v_cmp_ne_u64_e32 vcc, v[20:21], v[18:19]
	s_and_saveexec_b64 s[42:43], vcc
	s_cbranch_execz .LBB4_83
; %bb.55:                               ;   in Loop: Header=BB4_53 Depth=1
	s_mov_b64 s[44:45], 0
	s_and_saveexec_b64 s[22:23], s[10:11]
	s_cbranch_execz .LBB4_57
; %bb.56:                               ;   in Loop: Header=BB4_53 Depth=1
	buffer_load_dword v4, off, s[0:3], s33 offset:96 ; 4-byte Folded Reload
	buffer_load_dword v5, off, s[0:3], s33 offset:112 ; 4-byte Folded Reload
	s_waitcnt vmcnt(1)
	v_add_u32_e32 v4, v20, v4
	s_waitcnt vmcnt(0)
	v_add_u32_e32 v5, v18, v5
	v_or_b32_e32 v4, v4, v5
	v_and_b32_e32 v4, 15, v4
	v_cmp_ne_u32_e32 vcc, 0, v4
	s_and_b64 s[44:45], vcc, exec
.LBB4_57:                               ;   in Loop: Header=BB4_53 Depth=1
	s_or_b64 exec, exec, s[22:23]
	v_cndmask_b32_e64 v4, 0, 1, s[44:45]
	v_cmp_ne_u32_e32 vcc, 0, v4
	s_cbranch_vccz .LBB4_59
; %bb.58:                               ;   in Loop: Header=BB4_53 Depth=1
	v_mov_b32_e32 v26, 0
	v_mov_b32_e32 v60, v37
	s_mov_b64 s[22:23], -1
	v_mov_b32_e32 v27, 0
	v_mov_b32_e32 v6, v0
	;; [unrolled: 1-line block ×4, first 2 shown]
	s_and_saveexec_b64 s[44:45], s[22:23]
	s_cbranch_execnz .LBB4_74
	s_branch .LBB4_82
.LBB4_59:                               ;   in Loop: Header=BB4_53 Depth=1
	v_ashrrev_i32_e32 v4, 31, v43
	v_lshrrev_b32_e32 v4, 20, v4
	v_add_co_u32_e32 v4, vcc, v42, v4
	v_addc_co_u32_e32 v5, vcc, 0, v43, vcc
	v_ashrrev_i64 v[40:41], 12, v[4:5]
	v_sub_co_u32_e32 v44, vcc, v40, v36
	v_subb_co_u32_e32 v45, vcc, v41, v37, vcc
	v_cmp_lt_i64_e32 vcc, 0, v[44:45]
	s_and_saveexec_b64 s[22:23], vcc
	s_cbranch_execz .LBB4_63
; %bb.60:                               ;   in Loop: Header=BB4_53 Depth=1
	buffer_load_dword v4, off, s[0:3], s33 offset:212 ; 4-byte Folded Reload
	buffer_load_dword v5, off, s[0:3], s33 offset:216 ; 4-byte Folded Reload
	s_mov_b64 s[44:45], 0
	s_waitcnt vmcnt(1)
	v_add_co_u32_e32 v4, vcc, v4, v24
	s_waitcnt vmcnt(0)
	v_addc_co_u32_e32 v5, vcc, v5, v33, vcc
	v_add_co_u32_e32 v6, vcc, v4, v20
	v_addc_co_u32_e32 v7, vcc, v5, v21, vcc
	v_add_co_u32_e32 v25, vcc, v6, v54
	;; [unrolled: 2-line block ×3, first 2 shown]
	buffer_store_dword v18, off, s[0:3], s33 offset:80 ; 4-byte Folded Spill
	s_nop 0
	buffer_store_dword v19, off, s[0:3], s33 offset:84 ; 4-byte Folded Spill
	buffer_store_dword v20, off, s[0:3], s33 offset:88 ; 4-byte Folded Spill
	;; [unrolled: 1-line block ×3, first 2 shown]
	v_addc_co_u32_e32 v5, vcc, v5, v19, vcc
	v_add_co_u32_e32 v43, vcc, v4, v61
	v_addc_co_u32_e32 v46, vcc, v5, v62, vcc
.LBB4_61:                               ;   Parent Loop BB4_53 Depth=1
                                        ; =>  This Inner Loop Header: Depth=2
	v_add_co_u32_e32 v4, vcc, v38, v25
	v_addc_co_u32_e32 v5, vcc, v39, v42, vcc
	global_load_dwordx4 v[56:59], v[4:5], off glc slc
	global_load_dwordx4 v[6:9], v[4:5], off offset:1024 glc slc
	global_load_dwordx4 v[18:21], v[4:5], off offset:2048 glc slc
	;; [unrolled: 1-line block ×3, first 2 shown]
	v_add_co_u32_e32 v4, vcc, v38, v43
	v_addc_co_u32_e32 v5, vcc, v39, v46, vcc
	v_sub_co_u32_e32 v44, vcc, v44, v14
	v_subbrev_co_u32_e32 v45, vcc, 0, v45, vcc
	v_add_co_u32_e32 v25, vcc, v25, v15
	v_addc_co_u32_e32 v42, vcc, 0, v42, vcc
	v_add_co_u32_e32 v43, vcc, v43, v15
	v_addc_co_u32_e32 v46, vcc, 0, v46, vcc
	v_cmp_gt_i64_e32 vcc, 1, v[44:45]
	s_waitcnt vmcnt(3)
	global_store_dwordx4 v[4:5], v[56:59], off glc slc
	s_waitcnt vmcnt(3)
	global_store_dwordx4 v[4:5], v[6:9], off offset:1024 glc slc
	s_waitcnt vmcnt(3)
	global_store_dwordx4 v[4:5], v[18:21], off offset:2048 glc slc
	;; [unrolled: 2-line block ×3, first 2 shown]
	s_or_b64 s[44:45], vcc, s[44:45]
	s_andn2_b64 exec, exec, s[44:45]
	s_cbranch_execnz .LBB4_61
; %bb.62:                               ;   in Loop: Header=BB4_53 Depth=1
	s_or_b64 exec, exec, s[44:45]
	buffer_load_dword v42, off, s[0:3], s33 offset:104 ; 4-byte Folded Reload
	buffer_load_dword v43, off, s[0:3], s33 offset:108 ; 4-byte Folded Reload
	;; [unrolled: 1-line block ×6, first 2 shown]
.LBB4_63:                               ;   in Loop: Header=BB4_53 Depth=1
	s_or_b64 exec, exec, s[22:23]
	v_lshlrev_b64 v[45:46], 12, v[40:41]
	v_mov_b32_e32 v26, 0
	s_waitcnt vmcnt(4)
	v_cmp_ne_u64_e32 vcc, v[42:43], v[45:46]
	v_mov_b32_e32 v27, 0
	s_mov_b64 s[22:23], 0
                                        ; implicit-def: $vgpr42_vgpr43
                                        ; implicit-def: $vgpr6
                                        ; implicit-def: $vgpr56
                                        ; implicit-def: $vgpr59_vgpr60
	s_and_saveexec_b64 s[44:45], vcc
	s_cbranch_execz .LBB4_73
; %bb.64:                               ;   in Loop: Header=BB4_53 Depth=1
	buffer_load_dword v4, off, s[0:3], s33 offset:104 ; 4-byte Folded Reload
	buffer_load_dword v5, off, s[0:3], s33 offset:108 ; 4-byte Folded Reload
	s_waitcnt vmcnt(1)
	v_sub_co_u32_e32 v25, vcc, v4, v45
	s_waitcnt vmcnt(0)
	v_subb_co_u32_e32 v40, vcc, v5, v46, vcc
	v_ashrrev_i32_e32 v4, 31, v40
	v_lshrrev_b32_e32 v4, 22, v4
	v_add_co_u32_e32 v4, vcc, v25, v4
	v_addc_co_u32_e32 v5, vcc, 0, v40, vcc
	v_ashrrev_i64 v[57:58], 10, v[4:5]
	v_and_b32_e32 v4, 0xfffffc00, v4
	v_add_co_u32_e32 v26, vcc, v4, v45
	v_addc_co_u32_e32 v27, vcc, v5, v46, vcc
	v_sub_co_u32_e32 v42, vcc, v25, v4
	v_subb_co_u32_e32 v43, vcc, v40, v5, vcc
	v_cmp_lt_i64_e32 vcc, 15, v[42:43]
	s_and_saveexec_b64 s[22:23], vcc
	s_cbranch_execz .LBB4_66
; %bb.65:                               ;   in Loop: Header=BB4_53 Depth=1
	buffer_load_dword v4, off, s[0:3], s33 offset:104 ; 4-byte Folded Reload
	buffer_load_dword v5, off, s[0:3], s33 offset:108 ; 4-byte Folded Reload
	v_add_co_u32_e32 v57, vcc, 1, v57
	v_addc_co_u32_e32 v58, vcc, 0, v58, vcc
	s_waitcnt vmcnt(0)
	v_mov_b32_e32 v5, v32
	v_and_b32_e32 v4, 15, v4
	v_sub_co_u32_e32 v6, vcc, v42, v4
	v_subbrev_co_u32_e32 v7, vcc, 0, v43, vcc
	v_add_co_u32_e32 v26, vcc, v6, v26
	v_mov_b32_e32 v43, v5
	v_addc_co_u32_e32 v27, vcc, v7, v27, vcc
	v_mov_b32_e32 v42, v4
.LBB4_66:                               ;   in Loop: Header=BB4_53 Depth=1
	s_or_b64 exec, exec, s[22:23]
	buffer_load_dword v5, off, s[0:3], s33 offset:76 ; 4-byte Folded Reload
	v_lshlrev_b32_e32 v4, 6, v44
	s_waitcnt vmcnt(0)
	v_sub_u32_e32 v4, v5, v4
	v_ashrrev_i32_e32 v5, 31, v4
	v_lshrrev_b32_e32 v5, 26, v5
	v_add_u32_e32 v5, v4, v5
	v_ashrrev_i32_e32 v6, 6, v5
	v_and_b32_e32 v5, 0xffffffc0, v5
	v_sub_u32_e32 v44, v4, v5
	v_lshlrev_b32_e32 v4, 4, v44
	v_lshl_add_u32 v41, v6, 10, v4
	v_ashrrev_i32_e32 v47, 31, v41
	v_sub_co_u32_e32 v59, vcc, v25, v41
	v_subb_co_u32_e32 v60, vcc, v40, v47, vcc
	v_ashrrev_i32_e32 v4, 31, v6
	v_sub_co_u32_e32 v57, vcc, v57, v6
	v_subb_co_u32_e32 v58, vcc, v58, v4, vcc
	v_cmp_lt_i64_e32 vcc, 15, v[59:60]
	s_and_saveexec_b64 s[46:47], vcc
	s_cbranch_execz .LBB4_70
; %bb.67:                               ;   in Loop: Header=BB4_53 Depth=1
	buffer_load_dword v4, off, s[0:3], s33 offset:136 ; 4-byte Folded Reload
	buffer_load_dword v5, off, s[0:3], s33 offset:140 ; 4-byte Folded Reload
	v_add_co_u32_e32 v25, vcc, v20, v54
	v_addc_co_u32_e32 v40, vcc, v21, v55, vcc
	s_mov_b64 s[56:57], 0
	s_waitcnt vmcnt(1)
	v_add_co_u32_e32 v4, vcc, v4, v24
	s_waitcnt vmcnt(0)
	v_addc_co_u32_e32 v5, vcc, v5, v33, vcc
	v_add_co_u32_e32 v4, vcc, v4, v45
	v_addc_co_u32_e32 v5, vcc, v5, v46, vcc
	v_add_co_u32_e32 v41, vcc, v4, v41
	;; [unrolled: 2-line block ×3, first 2 shown]
	v_addc_co_u32_e32 v47, vcc, v19, v62, vcc
.LBB4_68:                               ;   Parent Loop BB4_53 Depth=1
                                        ; =>  This Inner Loop Header: Depth=2
	v_add_co_u32_e32 v4, vcc, v25, v41
	v_addc_co_u32_e32 v5, vcc, v40, v45, vcc
	global_load_dwordx4 v[6:9], v[4:5], off glc slc
	v_add_co_u32_e32 v4, vcc, v46, v41
	v_addc_co_u32_e32 v5, vcc, v47, v45, vcc
	v_sub_co_u32_e32 v59, vcc, v59, v34
	v_subbrev_co_u32_e32 v60, vcc, 0, v60, vcc
	v_sub_co_u32_e32 v57, vcc, v57, v14
	v_subbrev_co_u32_e32 v58, vcc, 0, v58, vcc
	v_cmp_gt_i64_e64 s[22:23], 16, v[59:60]
	v_add_co_u32_e32 v41, vcc, v41, v34
	v_addc_co_u32_e32 v45, vcc, 0, v45, vcc
	s_or_b64 s[56:57], s[22:23], s[56:57]
	s_waitcnt vmcnt(0)
	global_store_dwordx4 v[4:5], v[6:9], off glc slc
	s_andn2_b64 exec, exec, s[56:57]
	s_cbranch_execnz .LBB4_68
; %bb.69:                               ;   in Loop: Header=BB4_53 Depth=1
	s_or_b64 exec, exec, s[56:57]
.LBB4_70:                               ;   in Loop: Header=BB4_53 Depth=1
	s_or_b64 exec, exec, s[46:47]
	v_cmp_ne_u64_e32 vcc, 0, v[42:43]
	s_mov_b64 s[46:47], 0
                                        ; implicit-def: $vgpr6
                                        ; implicit-def: $vgpr56
                                        ; implicit-def: $vgpr59_vgpr60
	s_and_saveexec_b64 s[22:23], vcc
	s_cbranch_execz .LBB4_72
; %bb.71:                               ;   in Loop: Header=BB4_53 Depth=1
	v_cmp_lt_i64_e32 vcc, 0, v[57:58]
	s_mov_b64 s[46:47], exec
	v_cndmask_b32_e32 v4, 0, v14, vcc
	v_sub_u32_e32 v4, v4, v57
	v_lshl_add_u32 v6, v4, 6, v44
	v_ashrrev_i32_e32 v4, 31, v6
	v_lshrrev_b32_e32 v4, 26, v4
	v_add_u32_e32 v4, v6, v4
	v_ashrrev_i32_e32 v56, 6, v4
	v_ashrrev_i32_e32 v57, 31, v56
	v_mov_b32_e32 v60, v57
	v_mov_b32_e32 v59, v56
.LBB4_72:                               ;   in Loop: Header=BB4_53 Depth=1
	s_or_b64 exec, exec, s[22:23]
	s_and_b64 s[22:23], s[46:47], exec
.LBB4_73:                               ;   in Loop: Header=BB4_53 Depth=1
	s_or_b64 exec, exec, s[44:45]
	s_and_saveexec_b64 s[44:45], s[22:23]
	s_cbranch_execz .LBB4_82
.LBB4_74:                               ;   in Loop: Header=BB4_53 Depth=1
	v_ashrrev_i32_e32 v4, 31, v43
	v_lshrrev_b32_e32 v4, 22, v4
	v_add_co_u32_e32 v4, vcc, v42, v4
	v_addc_co_u32_e32 v5, vcc, 0, v43, vcc
	v_ashrrev_i64 v[46:47], 10, v[4:5]
	v_ashrrev_i32_e32 v4, 31, v6
	v_sub_co_u32_e32 v44, vcc, v46, v59
	v_subb_co_u32_e32 v45, vcc, v47, v60, vcc
	v_cmp_lt_i64_e32 vcc, 0, v[44:45]
	v_lshrrev_b32_e32 v4, 26, v4
	s_and_saveexec_b64 s[22:23], vcc
	s_cbranch_execz .LBB4_78
; %bb.75:                               ;   in Loop: Header=BB4_53 Depth=1
	buffer_store_dword v4, off, s[0:3], s33 offset:208 ; 4-byte Folded Spill
	v_add_u32_e32 v4, v6, v4
	v_and_b32_e32 v4, 0xffffffc0, v4
	buffer_store_dword v6, off, s[0:3], s33 offset:204 ; 4-byte Folded Spill
	v_sub_u32_e32 v4, v6, v4
	v_lshl_add_u32 v56, v56, 10, v4
	buffer_load_dword v4, off, s[0:3], s33 offset:136 ; 4-byte Folded Reload
	buffer_load_dword v5, off, s[0:3], s33 offset:140 ; 4-byte Folded Reload
	v_ashrrev_i32_e32 v58, 31, v56
	s_mov_b64 s[46:47], 0
	s_waitcnt vmcnt(1)
	v_add_co_u32_e32 v4, vcc, v4, v24
	s_waitcnt vmcnt(0)
	v_addc_co_u32_e32 v5, vcc, v5, v33, vcc
	v_add_co_u32_e32 v4, vcc, v4, v26
	buffer_store_dword v26, off, s[0:3], s33 offset:196 ; 4-byte Folded Spill
	s_nop 0
	buffer_store_dword v27, off, s[0:3], s33 offset:200 ; 4-byte Folded Spill
	v_addc_co_u32_e32 v5, vcc, v5, v27, vcc
	v_add_co_u32_e32 v6, vcc, v4, v20
	v_addc_co_u32_e32 v7, vcc, v5, v21, vcc
	v_add_co_u32_e32 v59, vcc, v6, v54
	;; [unrolled: 2-line block ×3, first 2 shown]
	buffer_store_dword v18, off, s[0:3], s33 offset:80 ; 4-byte Folded Spill
	s_nop 0
	buffer_store_dword v19, off, s[0:3], s33 offset:84 ; 4-byte Folded Spill
	buffer_store_dword v20, off, s[0:3], s33 offset:88 ; 4-byte Folded Spill
	buffer_store_dword v21, off, s[0:3], s33 offset:92 ; 4-byte Folded Spill
	v_addc_co_u32_e32 v5, vcc, v5, v19, vcc
	v_add_co_u32_e32 v40, vcc, v4, v61
	v_addc_co_u32_e32 v41, vcc, v5, v62, vcc
.LBB4_76:                               ;   Parent Loop BB4_53 Depth=1
                                        ; =>  This Inner Loop Header: Depth=2
	v_add_co_u32_e32 v4, vcc, v56, v59
	v_addc_co_u32_e32 v5, vcc, v58, v60, vcc
	flat_load_ubyte v6, v[4:5] glc slc
	flat_load_ubyte v7, v[4:5] offset:64 glc slc
	flat_load_ubyte v8, v[4:5] offset:128 glc slc
	;; [unrolled: 1-line block ×15, first 2 shown]
	v_add_co_u32_e32 v4, vcc, v56, v40
	v_addc_co_u32_e32 v5, vcc, v58, v41, vcc
	v_sub_co_u32_e32 v44, vcc, v44, v14
	v_subbrev_co_u32_e32 v45, vcc, 0, v45, vcc
	v_add_co_u32_e32 v59, vcc, v59, v34
	v_addc_co_u32_e32 v60, vcc, 0, v60, vcc
	v_add_co_u32_e32 v40, vcc, v40, v34
	v_addc_co_u32_e32 v41, vcc, 0, v41, vcc
	v_cmp_gt_i64_e32 vcc, 1, v[44:45]
	s_waitcnt vmcnt(0) lgkmcnt(0)
	flat_store_byte v[4:5], v6 glc slc
	flat_store_byte v[4:5], v7 offset:64 glc slc
	flat_store_byte v[4:5], v8 offset:128 glc slc
	;; [unrolled: 1-line block ×15, first 2 shown]
	s_or_b64 s[46:47], vcc, s[46:47]
	s_andn2_b64 exec, exec, s[46:47]
	s_cbranch_execnz .LBB4_76
; %bb.77:                               ;   in Loop: Header=BB4_53 Depth=1
	s_or_b64 exec, exec, s[46:47]
	buffer_load_dword v52, off, s[0:3], s33 offset:172 ; 4-byte Folded Reload
	buffer_load_dword v53, off, s[0:3], s33 offset:176 ; 4-byte Folded Reload
	;; [unrolled: 1-line block ×10, first 2 shown]
.LBB4_78:                               ;   in Loop: Header=BB4_53 Depth=1
	s_or_b64 exec, exec, s[22:23]
	v_lshlrev_b64 v[45:46], 10, v[46:47]
	v_cmp_ne_u64_e32 vcc, v[42:43], v[45:46]
	s_and_b64 exec, exec, vcc
	s_cbranch_execz .LBB4_82
; %bb.79:                               ;   in Loop: Header=BB4_53 Depth=1
	s_waitcnt vmcnt(0)
	v_add_u32_e32 v4, v6, v4
	v_and_b32_e32 v4, 0xffffffc0, v4
	v_sub_u32_e32 v4, v6, v4
	v_lshlrev_b32_e32 v5, 6, v44
	v_sub_u32_e32 v25, v4, v5
	v_ashrrev_i32_e32 v40, 31, v25
	v_add_co_u32_e32 v4, vcc, v45, v25
	v_addc_co_u32_e32 v5, vcc, v46, v40, vcc
	v_sub_co_u32_e32 v42, vcc, v42, v4
	v_subb_co_u32_e32 v43, vcc, v43, v5, vcc
	v_cmp_lt_i64_e32 vcc, 0, v[42:43]
	s_and_b64 exec, exec, vcc
	s_cbranch_execz .LBB4_82
; %bb.80:                               ;   in Loop: Header=BB4_53 Depth=1
	buffer_load_dword v4, off, s[0:3], s33 offset:136 ; 4-byte Folded Reload
	buffer_load_dword v5, off, s[0:3], s33 offset:140 ; 4-byte Folded Reload
	v_add_co_u32_e32 v8, vcc, v20, v54
	v_addc_co_u32_e32 v9, vcc, v21, v55, vcc
	s_mov_b64 s[46:47], 0
	s_waitcnt vmcnt(0)
	v_add_co_u32_e32 v4, vcc, v4, v24
	v_addc_co_u32_e32 v5, vcc, v5, v33, vcc
	v_add_co_u32_e32 v4, vcc, v4, v26
	v_addc_co_u32_e32 v5, vcc, v5, v27, vcc
	;; [unrolled: 2-line block ×5, first 2 shown]
.LBB4_81:                               ;   Parent Loop BB4_53 Depth=1
                                        ; =>  This Inner Loop Header: Depth=2
	v_add_co_u32_e32 v4, vcc, v8, v24
	v_addc_co_u32_e32 v5, vcc, v9, v25, vcc
	flat_load_ubyte v18, v[4:5] glc slc
	v_add_co_u32_e32 v4, vcc, v6, v24
	v_addc_co_u32_e32 v5, vcc, v7, v25, vcc
	v_sub_co_u32_e32 v42, vcc, v42, v3
	v_subbrev_co_u32_e32 v43, vcc, 0, v43, vcc
	v_cmp_gt_i64_e64 s[22:23], 1, v[42:43]
	v_add_co_u32_e32 v24, vcc, v24, v3
	v_addc_co_u32_e32 v25, vcc, 0, v25, vcc
	s_or_b64 s[46:47], s[22:23], s[46:47]
	s_waitcnt vmcnt(0) lgkmcnt(0)
	flat_store_byte v[4:5], v18 glc slc
	s_andn2_b64 exec, exec, s[46:47]
	s_cbranch_execnz .LBB4_81
.LBB4_82:                               ;   in Loop: Header=BB4_53 Depth=1
	s_or_b64 exec, exec, s[44:45]
	buffer_load_dword v8, off, s[0:3], s33 offset:168 ; 4-byte Folded Reload
	buffer_load_dword v28, off, s[0:3], s33 offset:120 ; 4-byte Folded Reload
	;; [unrolled: 1-line block ×3, first 2 shown]
	s_xor_b64 s[22:23], exec, -1
.LBB4_83:                               ;   in Loop: Header=BB4_53 Depth=1
	s_or_b64 exec, exec, s[42:43]
.LBB4_84:                               ;   in Loop: Header=BB4_53 Depth=1
	s_mov_b64 s[42:43], exec
	buffer_load_dword v59, off, s[0:3], s33 offset:60 ; 4-byte Folded Reload
	buffer_load_dword v60, off, s[0:3], s33 offset:64 ; 4-byte Folded Reload
	buffer_load_dword v61, off, s[0:3], s33 offset:68 ; 4-byte Folded Reload
	buffer_load_dword v62, off, s[0:3], s33 offset:72 ; 4-byte Folded Reload
	s_and_b64 s[22:23], s[42:43], s[22:23]
	s_mov_b64 exec, s[22:23]
	s_cbranch_execz .LBB4_613
; %bb.85:                               ;   in Loop: Header=BB4_53 Depth=1
	buffer_load_dword v4, off, s[0:3], s33 offset:104 ; 4-byte Folded Reload
	buffer_load_dword v5, off, s[0:3], s33 offset:108 ; 4-byte Folded Reload
	s_waitcnt vmcnt(0)
	v_cmp_lt_i64_e32 vcc, 0, v[4:5]
	s_and_saveexec_b64 s[44:45], vcc
	s_cbranch_execz .LBB4_612
; %bb.86:                               ;   in Loop: Header=BB4_53 Depth=1
	buffer_load_dword v4, off, s[0:3], s33 offset:104 ; 4-byte Folded Reload
	buffer_load_dword v5, off, s[0:3], s33 offset:108 ; 4-byte Folded Reload
	s_cmp_gt_u32 s26, 1
	v_mov_b32_e32 v6, 0
	s_mov_b64 s[46:47], 0
	v_mov_b32_e32 v7, 0
	s_cselect_b64 s[56:57], -1, 0
	s_branch .LBB4_89
.LBB4_87:                               ;   in Loop: Header=BB4_89 Depth=2
	s_or_b64 exec, exec, s[60:61]
.LBB4_88:                               ;   in Loop: Header=BB4_89 Depth=2
	s_or_b64 exec, exec, s[58:59]
	buffer_load_dword v28, off, s[0:3], s33 offset:120 ; 4-byte Folded Reload
	buffer_load_dword v29, off, s[0:3], s33 offset:124 ; 4-byte Folded Reload
	;; [unrolled: 1-line block ×6, first 2 shown]
	s_waitcnt vmcnt(0)
	v_add_co_u32_e32 v6, vcc, v6, v28
	v_addc_co_u32_e32 v7, vcc, 0, v7, vcc
	v_cmp_ge_i64_e32 vcc, v[6:7], v[4:5]
	s_or_b64 s[46:47], vcc, s[46:47]
	s_andn2_b64 exec, exec, s[46:47]
	s_cbranch_execz .LBB4_611
.LBB4_89:                               ;   Parent Loop BB4_53 Depth=1
                                        ; =>  This Loop Header: Depth=2
                                        ;       Child Loop BB4_93 Depth 3
                                        ;         Child Loop BB4_101 Depth 4
                                        ;         Child Loop BB4_125 Depth 4
	;; [unrolled: 1-line block ×8, first 2 shown]
                                        ;       Child Loop BB4_213 Depth 3
                                        ;         Child Loop BB4_219 Depth 4
                                        ;         Child Loop BB4_243 Depth 4
                                        ;       Child Loop BB4_265 Depth 3
                                        ;         Child Loop BB4_268 Depth 4
                                        ;           Child Loop BB4_276 Depth 5
                                        ;           Child Loop BB4_304 Depth 5
	;; [unrolled: 1-line block ×8, first 2 shown]
                                        ;         Child Loop BB4_393 Depth 4
                                        ;           Child Loop BB4_399 Depth 5
                                        ;           Child Loop BB4_427 Depth 5
                                        ;       Child Loop BB4_447 Depth 3
                                        ;         Child Loop BB4_455 Depth 4
                                        ;         Child Loop BB4_479 Depth 4
	;; [unrolled: 1-line block ×8, first 2 shown]
                                        ;       Child Loop BB4_566 Depth 3
                                        ;         Child Loop BB4_572 Depth 4
                                        ;         Child Loop BB4_596 Depth 4
	s_waitcnt vmcnt(0)
	v_sub_co_u32_e32 v4, vcc, v4, v6
	buffer_store_dword v6, off, s[0:3], s33 offset:80 ; 4-byte Folded Spill
	s_nop 0
	buffer_store_dword v7, off, s[0:3], s33 offset:84 ; 4-byte Folded Spill
	v_mov_b32_e32 v24, 0
	v_subb_co_u32_e32 v5, vcc, v5, v7, vcc
	v_cmp_lt_i64_e32 vcc, v[28:29], v[4:5]
	v_cndmask_b32_e32 v8, v4, v28, vcc
	v_cndmask_b32_e64 v9, v5, 0, vcc
	v_add_u32_e32 v4, 31, v8
	v_lshrrev_b32_e32 v4, 1, v4
	v_cmp_ne_u64_e32 vcc, 0, v[8:9]
	v_and_b32_e32 v4, 0x3ffffff0, v4
	v_max_i32_e32 v52, s51, v4
	s_and_b64 s[58:59], s[40:41], vcc
	v_mov_b32_e32 v9, 0
	s_mov_b64 s[60:61], exec
	s_and_b64 s[22:23], s[60:61], s[58:59]
	v_ashrrev_i32_e32 v29, 31, v12
	s_mov_b64 exec, s[22:23]
	s_cbranch_execz .LBB4_209
; %bb.90:                               ;   in Loop: Header=BB4_89 Depth=2
	s_mov_b32 s55, 1
	s_mov_b64 s[72:73], -1
	v_mov_b32_e32 v9, 0
	s_mov_b64 s[62:63], 0
	s_branch .LBB4_93
.LBB4_91:                               ;   in Loop: Header=BB4_93 Depth=3
	s_or_b64 exec, exec, s[74:75]
	v_add_co_u32_e32 v48, vcc, 2, v48
	v_addc_co_u32_e32 v49, vcc, 0, v49, vcc
	flat_store_dwordx2 v[16:17], v[48:49]
.LBB4_92:                               ;   in Loop: Header=BB4_93 Depth=3
	s_or_b64 exec, exec, s[22:23]
	v_add_u32_e32 v9, v52, v9
	v_cmp_ge_i32_e32 vcc, v9, v8
	s_xor_b64 s[22:23], s[72:73], -1
	s_or_b64 s[22:23], s[22:23], vcc
	s_and_b64 s[22:23], exec, s[22:23]
	s_or_b64 s[62:63], s[22:23], s[62:63]
	s_mov_b64 s[72:73], 0
	v_mov_b32_e32 v24, s55
	s_mov_b32 s55, 2
	s_andn2_b64 exec, exec, s[62:63]
	s_cbranch_execz .LBB4_259
.LBB4_93:                               ;   Parent Loop BB4_53 Depth=1
                                        ;     Parent Loop BB4_89 Depth=2
                                        ; =>    This Loop Header: Depth=3
                                        ;         Child Loop BB4_101 Depth 4
                                        ;         Child Loop BB4_125 Depth 4
	;; [unrolled: 1-line block ×8, first 2 shown]
	s_and_saveexec_b64 s[22:23], s[4:5]
	s_cbranch_execz .LBB4_95
; %bb.94:                               ;   in Loop: Header=BB4_93 Depth=3
	s_trap 2
	buffer_load_dword v6, off, s[0:3], s33 offset:96 ; 4-byte Folded Reload
	ds_read_b64 v[4:5], v0
	v_mov_b32_e32 v33, v32
	s_waitcnt vmcnt(0) lgkmcnt(0)
	v_add_co_u32_e32 v4, vcc, v4, v6
	buffer_load_dword v6, off, s[0:3], s33 offset:100 ; 4-byte Folded Reload
	s_waitcnt vmcnt(0)
	v_addc_co_u32_e32 v5, vcc, v5, v6, vcc
	buffer_load_dword v6, off, s[0:3], s33 offset:80 ; 4-byte Folded Reload
	buffer_load_dword v7, off, s[0:3], s33 offset:84 ; 4-byte Folded Reload
	ds_write_b64 v0, v[32:33]
	s_waitcnt vmcnt(1)
	v_add_co_u32_e32 v4, vcc, v4, v6
	s_waitcnt vmcnt(0)
	v_addc_co_u32_e32 v5, vcc, v5, v7, vcc
	v_ashrrev_i32_e32 v6, 31, v9
	v_add_co_u32_e32 v4, vcc, v4, v9
	v_addc_co_u32_e32 v5, vcc, v5, v6, vcc
	ds_write_b64 v0, v[4:5]
.LBB4_95:                               ;   in Loop: Header=BB4_93 Depth=3
	s_or_b64 exec, exec, s[22:23]
	v_sub_u32_e32 v4, v8, v9
	v_min_i32_e32 v52, v52, v4
	v_and_b32_e32 v4, 8, v13
	v_cmp_ne_u32_e32 vcc, 0, v4
	s_and_saveexec_b64 s[74:75], vcc
	s_cbranch_execz .LBB4_117
; %bb.96:                               ;   in Loop: Header=BB4_93 Depth=3
	s_waitcnt vmcnt(0)
	v_add_co_u32_e32 v4, vcc, 8, v22
	v_addc_co_u32_e32 v5, vcc, 0, v23, vcc
	v_add_co_u32_e32 v54, vcc, 2, v48
	v_addc_co_u32_e32 v55, vcc, 0, v49, vcc
	v_cmp_lt_u64_e32 vcc, v[4:5], v[54:55]
	s_and_saveexec_b64 s[76:77], vcc
	s_cbranch_execz .LBB4_108
; %bb.97:                               ;   in Loop: Header=BB4_93 Depth=3
	v_and_b32_e32 v4, 64, v13
	s_mov_b32 s64, 0
	v_cmp_eq_u32_e32 vcc, 0, v4
	s_mov_b64 s[78:79], 0
                                        ; implicit-def: $sgpr88_sgpr89
                                        ; implicit-def: $sgpr90_sgpr91
                                        ; implicit-def: $sgpr92_sgpr93
	s_branch .LBB4_101
.LBB4_98:                               ;   in Loop: Header=BB4_101 Depth=4
	s_waitcnt vmcnt(0) lgkmcnt(0)
	v_add_co_u32_e64 v4, s[22:23], 8, v22
	v_addc_co_u32_e64 v5, s[22:23], 0, v23, s[22:23]
	v_cmp_ge_u64_e64 s[22:23], v[4:5], v[54:55]
	s_or_b64 s[34:35], s[34:35], exec
	s_orn2_b64 s[30:31], s[22:23], exec
.LBB4_99:                               ;   in Loop: Header=BB4_101 Depth=4
	s_or_b64 exec, exec, s[38:39]
	s_andn2_b64 s[22:23], s[92:93], exec
	s_and_b64 s[92:93], s[34:35], exec
	s_or_b64 s[92:93], s[22:23], s[92:93]
	s_andn2_b64 s[22:23], s[90:91], exec
	s_and_b64 s[90:91], s[30:31], exec
	s_or_b64 s[90:91], s[22:23], s[90:91]
.LBB4_100:                              ;   in Loop: Header=BB4_101 Depth=4
	s_or_b64 exec, exec, s[94:95]
	s_and_b64 s[22:23], exec, s[90:91]
	s_or_b64 s[78:79], s[22:23], s[78:79]
	s_andn2_b64 s[22:23], s[88:89], exec
	s_and_b64 s[88:89], s[92:93], exec
	s_or_b64 s[88:89], s[22:23], s[88:89]
	s_andn2_b64 exec, exec, s[78:79]
	s_cbranch_execz .LBB4_105
.LBB4_101:                              ;   Parent Loop BB4_53 Depth=1
                                        ;     Parent Loop BB4_89 Depth=2
                                        ;       Parent Loop BB4_93 Depth=3
                                        ; =>      This Inner Loop Header: Depth=4
	s_sleep 1
	s_waitcnt vmcnt(0) lgkmcnt(0)
	flat_load_dwordx2 v[22:23], v[16:17] glc
	s_or_b64 s[92:93], s[92:93], exec
	s_or_b64 s[90:91], s[90:91], exec
                                        ; implicit-def: $vgpr24
	s_and_saveexec_b64 s[94:95], vcc
	s_cbranch_execz .LBB4_100
; %bb.102:                              ;   in Loop: Header=BB4_101 Depth=4
	s_cmpk_lt_i32 s64, 0x270f
	s_cselect_b64 s[36:37], -1, 0
	s_cmpk_gt_i32 s64, 0x270e
	s_mov_b64 s[30:31], -1
	s_cbranch_scc0 .LBB4_104
; %bb.103:                              ;   in Loop: Header=BB4_101 Depth=4
	s_trap 2
	ds_read_b64 v[4:5], v0
	s_andn2_b64 s[36:37], s[36:37], exec
	s_mov_b32 s64, 0
	s_mov_b64 s[34:35], 0
	s_waitcnt vmcnt(0) lgkmcnt(0)
	flat_load_dword v24, v[4:5] glc
	s_waitcnt vmcnt(0) lgkmcnt(0)
	buffer_wbinvl1_vol
	v_cmp_eq_u32_e64 s[22:23], 0, v24
	s_and_b64 s[22:23], s[22:23], exec
	s_or_b64 s[36:37], s[36:37], s[22:23]
	s_and_saveexec_b64 s[38:39], s[36:37]
	s_cbranch_execz .LBB4_99
	s_branch .LBB4_98
.LBB4_104:                              ;   in Loop: Header=BB4_101 Depth=4
	s_add_i32 s64, s64, 1
	s_mov_b64 s[34:35], -1
                                        ; implicit-def: $vgpr24
	s_and_saveexec_b64 s[38:39], s[36:37]
	s_cbranch_execz .LBB4_99
	s_branch .LBB4_98
.LBB4_105:                              ;   in Loop: Header=BB4_93 Depth=3
	s_or_b64 exec, exec, s[78:79]
	s_xor_b64 s[22:23], s[88:89], -1
	s_and_saveexec_b64 s[78:79], s[22:23]
	s_xor_b64 s[22:23], exec, s[78:79]
	s_cbranch_execz .LBB4_107
; %bb.106:                              ;   in Loop: Header=BB4_93 Depth=3
	v_or_b32_e32 v13, 64, v13
	s_waitcnt lgkmcnt(0)
	ds_write_b32 v0, v24
	s_trap 2
.LBB4_107:                              ;   in Loop: Header=BB4_93 Depth=3
	s_or_b64 exec, exec, s[22:23]
.LBB4_108:                              ;   in Loop: Header=BB4_93 Depth=3
	s_or_b64 exec, exec, s[76:77]
	v_and_b32_e32 v4, 0x100, v13
	v_cmp_ne_u32_e32 vcc, 0, v4
	v_and_b32_e32 v24, 7, v48
	s_mov_b64 s[22:23], -1
	;;#ASMSTART
	s_wakeup
	;;#ASMEND
                                        ; implicit-def: $vgpr48_vgpr49
	s_and_saveexec_b64 s[76:77], vcc
	s_cbranch_execz .LBB4_112
; %bb.109:                              ;   in Loop: Header=BB4_93 Depth=3
	v_mad_u64_u32 v[40:41], s[22:23], v24, 24, v[59:60]
	v_ashrrev_i32_e32 v53, 31, v52
                                        ; implicit-def: $vgpr48_vgpr49
	flat_load_dword v4, v[40:41]
	s_nop 0
	flat_store_dwordx2 v[40:41], v[52:53] offset:8
	s_waitcnt vmcnt(0) lgkmcnt(0)
	v_cmp_ne_u32_e32 vcc, 1, v4
	v_cmp_eq_u32_e64 s[22:23], 1, v4
	s_and_saveexec_b64 s[78:79], s[22:23]
	s_cbranch_execz .LBB4_111
; %bb.110:                              ;   in Loop: Header=BB4_93 Depth=3
	flat_load_dword v48, v[40:41] offset:4 glc
	s_waitcnt vmcnt(0) lgkmcnt(0)
	v_ashrrev_i32_e32 v49, 31, v48
.LBB4_111:                              ;   in Loop: Header=BB4_93 Depth=3
	s_or_b64 exec, exec, s[78:79]
	s_orn2_b64 s[22:23], vcc, exec
.LBB4_112:                              ;   in Loop: Header=BB4_93 Depth=3
	s_or_b64 exec, exec, s[76:77]
	s_and_saveexec_b64 s[76:77], s[22:23]
; %bb.113:                              ;   in Loop: Header=BB4_93 Depth=3
	v_mad_i64_i32 v[48:49], s[22:23], v24, v12, 0
; %bb.114:                              ;   in Loop: Header=BB4_93 Depth=3
	s_or_b64 exec, exec, s[76:77]
	v_add_co_u32_e32 v4, vcc, v50, v48
	v_addc_co_u32_e32 v5, vcc, v51, v49, vcc
	ds_write_b64 v0, v[4:5] offset:784
	v_and_b32_e32 v4, 0x2000, v13
	v_cmp_ne_u32_e32 vcc, 0, v4
	s_and_saveexec_b64 s[22:23], vcc
	s_cbranch_execz .LBB4_116
; %bb.115:                              ;   in Loop: Header=BB4_93 Depth=3
	ds_read_b64 v[4:5], v0 offset:872
	s_waitcnt lgkmcnt(0)
	v_add_co_u32_e32 v4, vcc, 1, v4
	v_addc_co_u32_e32 v5, vcc, 0, v5, vcc
	ds_write_b64 v0, v[4:5] offset:872
.LBB4_116:                              ;   in Loop: Header=BB4_93 Depth=3
	s_or_b64 exec, exec, s[22:23]
	v_mov_b32_e32 v48, v54
	v_mov_b32_e32 v49, v55
.LBB4_117:                              ;   in Loop: Header=BB4_93 Depth=3
	s_or_b64 exec, exec, s[74:75]
	s_and_saveexec_b64 s[22:23], s[6:7]
	s_cbranch_execz .LBB4_136
; %bb.118:                              ;   in Loop: Header=BB4_93 Depth=3
	s_and_saveexec_b64 s[74:75], s[28:29]
	s_xor_b64 s[74:75], exec, s[74:75]
	s_cbranch_execz .LBB4_133
; %bb.119:                              ;   in Loop: Header=BB4_93 Depth=3
	s_and_saveexec_b64 s[76:77], s[12:13]
	s_cbranch_execz .LBB4_132
; %bb.120:                              ;   in Loop: Header=BB4_93 Depth=3
	s_mov_b64 s[88:89], exec
	v_mbcnt_lo_u32_b32 v4, s88, 0
	v_mbcnt_hi_u32_b32 v4, s89, v4
	v_cmp_eq_u32_e32 vcc, 0, v4
	s_waitcnt vmcnt(0) lgkmcnt(0)
	buffer_wbinvl1_vol
	s_and_saveexec_b64 s[78:79], vcc
	s_cbranch_execz .LBB4_122
; %bb.121:                              ;   in Loop: Header=BB4_93 Depth=3
	s_bcnt1_i32_b64 s88, s[88:89]
	v_mov_b32_e32 v4, s88
	v_mov_b32_e32 v5, v32
	ds_add_u64 v0, v[4:5]
	s_trap 2
.LBB4_122:                              ;   in Loop: Header=BB4_93 Depth=3
	s_or_b64 exec, exec, s[78:79]
	s_trap 2
	ds_read_b64 v[4:5], v0
	s_waitcnt lgkmcnt(0)
	v_add_co_u32_e32 v10, vcc, v10, v14
	v_addc_co_u32_e32 v11, vcc, 0, v11, vcc
	v_cmp_lt_u64_e32 vcc, v[4:5], v[10:11]
	s_and_saveexec_b64 s[78:79], vcc
	s_cbranch_execz .LBB4_131
; %bb.123:                              ;   in Loop: Header=BB4_93 Depth=3
	s_mov_b32 s34, 0
	s_mov_b64 s[88:89], 0
                                        ; implicit-def: $sgpr90_sgpr91
                                        ; implicit-def: $sgpr92_sgpr93
	s_branch .LBB4_125
.LBB4_124:                              ;   in Loop: Header=BB4_125 Depth=4
	s_or_b64 exec, exec, s[30:31]
	s_and_b64 s[94:95], exec, vcc
	s_or_b64 s[88:89], s[94:95], s[88:89]
	s_andn2_b64 s[90:91], s[90:91], exec
	s_and_b64 s[94:95], s[92:93], exec
	s_or_b64 s[90:91], s[90:91], s[94:95]
	s_andn2_b64 exec, exec, s[88:89]
	s_cbranch_execz .LBB4_129
.LBB4_125:                              ;   Parent Loop BB4_53 Depth=1
                                        ;     Parent Loop BB4_89 Depth=2
                                        ;       Parent Loop BB4_93 Depth=3
                                        ; =>      This Inner Loop Header: Depth=4
	s_add_i32 s34, s34, 1
	s_cmpk_lg_i32 s34, 0x2710
	s_cselect_b64 s[94:95], -1, 0
	s_and_b64 vcc, exec, s[94:95]
	s_cbranch_vccz .LBB4_127
; %bb.126:                              ;   in Loop: Header=BB4_125 Depth=4
	s_mov_b64 vcc, -1
	s_or_b64 s[92:93], s[92:93], exec
	s_and_saveexec_b64 s[30:31], s[94:95]
	s_cbranch_execz .LBB4_124
	s_branch .LBB4_128
.LBB4_127:                              ;   in Loop: Header=BB4_125 Depth=4
	s_trap 2
	ds_read_b64 v[4:5], v0
	s_andn2_b64 s[94:95], s[94:95], exec
	s_mov_b32 s34, 0
	s_waitcnt lgkmcnt(0)
	flat_load_dword v4, v[4:5] glc
	s_waitcnt vmcnt(0) lgkmcnt(0)
	buffer_wbinvl1_vol
	v_cmp_eq_u32_e32 vcc, 0, v4
	s_and_b64 vcc, vcc, exec
	s_or_b64 s[94:95], s[94:95], vcc
	s_mov_b64 vcc, -1
	s_or_b64 s[92:93], s[92:93], exec
	s_and_saveexec_b64 s[30:31], s[94:95]
	s_cbranch_execz .LBB4_124
.LBB4_128:                              ;   in Loop: Header=BB4_125 Depth=4
	s_sleep 1
	s_trap 2
	ds_read_b64 v[4:5], v0
	s_waitcnt lgkmcnt(0)
	s_andn2_b64 s[92:93], s[92:93], exec
	v_cmp_ge_u64_e32 vcc, v[4:5], v[10:11]
	s_orn2_b64 vcc, vcc, exec
	s_branch .LBB4_124
.LBB4_129:                              ;   in Loop: Header=BB4_93 Depth=3
	s_or_b64 exec, exec, s[88:89]
	s_and_saveexec_b64 s[88:89], s[90:91]
	s_xor_b64 s[88:89], exec, s[88:89]
	s_cbranch_execz .LBB4_131
; %bb.130:                              ;   in Loop: Header=BB4_93 Depth=3
	ds_write_b32 v0, v31
	s_trap 2
.LBB4_131:                              ;   in Loop: Header=BB4_93 Depth=3
	s_or_b64 exec, exec, s[78:79]
	;;#ASMSTART
	s_wakeup
	;;#ASMEND
.LBB4_132:                              ;   in Loop: Header=BB4_93 Depth=3
	s_or_b64 exec, exec, s[76:77]
.LBB4_133:                              ;   in Loop: Header=BB4_93 Depth=3
	s_andn2_saveexec_b64 s[74:75], s[74:75]
	s_cbranch_execz .LBB4_135
; %bb.134:                              ;   in Loop: Header=BB4_93 Depth=3
	s_waitcnt vmcnt(0) lgkmcnt(0)
	buffer_wbinvl1_vol
	s_barrier
.LBB4_135:                              ;   in Loop: Header=BB4_93 Depth=3
	s_or_b64 exec, exec, s[74:75]
.LBB4_136:                              ;   in Loop: Header=BB4_93 Depth=3
	s_or_b64 exec, exec, s[22:23]
	s_trap 2
	ds_read_b32 v24, v0
	v_and_b32_e32 v4, 0x4000, v13
	v_cmp_ne_u32_e32 vcc, 0, v4
	s_xor_b64 s[22:23], s[14:15], -1
	s_and_b64 s[74:75], s[22:23], vcc
	s_and_saveexec_b64 s[22:23], s[74:75]
	s_cbranch_execz .LBB4_155
; %bb.137:                              ;   in Loop: Header=BB4_93 Depth=3
	s_and_saveexec_b64 s[74:75], s[28:29]
	s_xor_b64 s[74:75], exec, s[74:75]
	s_cbranch_execz .LBB4_152
; %bb.138:                              ;   in Loop: Header=BB4_93 Depth=3
	s_and_saveexec_b64 s[76:77], s[12:13]
	s_cbranch_execz .LBB4_151
; %bb.139:                              ;   in Loop: Header=BB4_93 Depth=3
	s_mov_b64 s[88:89], exec
	v_mbcnt_lo_u32_b32 v4, s88, 0
	v_mbcnt_hi_u32_b32 v4, s89, v4
	v_cmp_eq_u32_e32 vcc, 0, v4
	s_waitcnt vmcnt(0) lgkmcnt(0)
	buffer_wbinvl1_vol
	s_and_saveexec_b64 s[78:79], vcc
	s_cbranch_execz .LBB4_141
; %bb.140:                              ;   in Loop: Header=BB4_93 Depth=3
	s_bcnt1_i32_b64 s88, s[88:89]
	v_mov_b32_e32 v4, s88
	v_mov_b32_e32 v5, v32
	ds_add_u64 v0, v[4:5]
	s_trap 2
.LBB4_141:                              ;   in Loop: Header=BB4_93 Depth=3
	s_or_b64 exec, exec, s[78:79]
	s_trap 2
	ds_read_b64 v[4:5], v0
	s_waitcnt lgkmcnt(0)
	v_add_co_u32_e32 v10, vcc, v10, v14
	v_addc_co_u32_e32 v11, vcc, 0, v11, vcc
	v_cmp_lt_u64_e32 vcc, v[4:5], v[10:11]
	s_and_saveexec_b64 s[78:79], vcc
	s_cbranch_execz .LBB4_150
; %bb.142:                              ;   in Loop: Header=BB4_93 Depth=3
	s_mov_b32 s34, 0
	s_mov_b64 s[88:89], 0
                                        ; implicit-def: $sgpr90_sgpr91
                                        ; implicit-def: $sgpr92_sgpr93
	s_branch .LBB4_144
.LBB4_143:                              ;   in Loop: Header=BB4_144 Depth=4
	s_or_b64 exec, exec, s[30:31]
	s_and_b64 s[94:95], exec, vcc
	s_or_b64 s[88:89], s[94:95], s[88:89]
	s_andn2_b64 s[90:91], s[90:91], exec
	s_and_b64 s[94:95], s[92:93], exec
	s_or_b64 s[90:91], s[90:91], s[94:95]
	s_andn2_b64 exec, exec, s[88:89]
	s_cbranch_execz .LBB4_148
.LBB4_144:                              ;   Parent Loop BB4_53 Depth=1
                                        ;     Parent Loop BB4_89 Depth=2
                                        ;       Parent Loop BB4_93 Depth=3
                                        ; =>      This Inner Loop Header: Depth=4
	s_add_i32 s34, s34, 1
	s_cmpk_lg_i32 s34, 0x2710
	s_cselect_b64 s[94:95], -1, 0
	s_and_b64 vcc, exec, s[94:95]
	s_cbranch_vccz .LBB4_146
; %bb.145:                              ;   in Loop: Header=BB4_144 Depth=4
	s_mov_b64 vcc, -1
	s_or_b64 s[92:93], s[92:93], exec
	s_and_saveexec_b64 s[30:31], s[94:95]
	s_cbranch_execz .LBB4_143
	s_branch .LBB4_147
.LBB4_146:                              ;   in Loop: Header=BB4_144 Depth=4
	s_trap 2
	ds_read_b64 v[4:5], v0
	s_andn2_b64 s[94:95], s[94:95], exec
	s_mov_b32 s34, 0
	s_waitcnt lgkmcnt(0)
	flat_load_dword v4, v[4:5] glc
	s_waitcnt vmcnt(0) lgkmcnt(0)
	buffer_wbinvl1_vol
	v_cmp_eq_u32_e32 vcc, 0, v4
	s_and_b64 vcc, vcc, exec
	s_or_b64 s[94:95], s[94:95], vcc
	s_mov_b64 vcc, -1
	s_or_b64 s[92:93], s[92:93], exec
	s_and_saveexec_b64 s[30:31], s[94:95]
	s_cbranch_execz .LBB4_143
.LBB4_147:                              ;   in Loop: Header=BB4_144 Depth=4
	s_sleep 1
	s_trap 2
	ds_read_b64 v[4:5], v0
	s_waitcnt lgkmcnt(0)
	s_andn2_b64 s[92:93], s[92:93], exec
	v_cmp_ge_u64_e32 vcc, v[4:5], v[10:11]
	s_orn2_b64 vcc, vcc, exec
	s_branch .LBB4_143
.LBB4_148:                              ;   in Loop: Header=BB4_93 Depth=3
	s_or_b64 exec, exec, s[88:89]
	s_and_saveexec_b64 s[88:89], s[90:91]
	s_xor_b64 s[88:89], exec, s[88:89]
	s_cbranch_execz .LBB4_150
; %bb.149:                              ;   in Loop: Header=BB4_93 Depth=3
	ds_write_b32 v0, v31
	s_trap 2
.LBB4_150:                              ;   in Loop: Header=BB4_93 Depth=3
	s_or_b64 exec, exec, s[78:79]
	;;#ASMSTART
	s_wakeup
	;;#ASMEND
.LBB4_151:                              ;   in Loop: Header=BB4_93 Depth=3
	s_or_b64 exec, exec, s[76:77]
.LBB4_152:                              ;   in Loop: Header=BB4_93 Depth=3
	s_andn2_saveexec_b64 s[74:75], s[74:75]
	s_cbranch_execz .LBB4_154
; %bb.153:                              ;   in Loop: Header=BB4_93 Depth=3
	s_waitcnt vmcnt(0) lgkmcnt(0)
	buffer_wbinvl1_vol
	s_barrier
.LBB4_154:                              ;   in Loop: Header=BB4_93 Depth=3
	s_or_b64 exec, exec, s[74:75]
.LBB4_155:                              ;   in Loop: Header=BB4_93 Depth=3
	s_or_b64 exec, exec, s[22:23]
	s_trap 2
	ds_read_b64 v[53:54], v0
	s_waitcnt lgkmcnt(0)
	v_cmp_eq_u64_e32 vcc, 0, v[53:54]
	s_cbranch_vccnz .LBB4_163
; %bb.156:                              ;   in Loop: Header=BB4_93 Depth=3
	s_trap 2
	ds_read_b64 v[40:41], v0
	s_waitcnt lgkmcnt(0)
	v_cmp_eq_u64_e32 vcc, 0, v[40:41]
	s_cbranch_vccnz .LBB4_163
; %bb.157:                              ;   in Loop: Header=BB4_93 Depth=3
	s_mov_b64 s[22:23], -1
	s_and_saveexec_b64 s[74:75], s[10:11]
	s_cbranch_execz .LBB4_159
; %bb.158:                              ;   in Loop: Header=BB4_93 Depth=3
	ds_read_b32 v4, v0 offset:720
	s_waitcnt lgkmcnt(0)
	v_and_b32_e32 v4, 15, v4
	v_cmp_eq_u32_e32 vcc, 0, v4
	s_orn2_b64 s[22:23], vcc, exec
.LBB4_159:                              ;   in Loop: Header=BB4_93 Depth=3
	s_or_b64 exec, exec, s[74:75]
	s_and_saveexec_b64 s[74:75], s[16:17]
	s_cbranch_execz .LBB4_161
; %bb.160:                              ;   in Loop: Header=BB4_93 Depth=3
	ds_read_b32 v4, v0 offset:784
	s_waitcnt lgkmcnt(0)
	v_and_b32_e32 v4, 15, v4
	v_cmp_eq_u32_e32 vcc, 0, v4
	s_and_b64 s[76:77], s[22:23], vcc
	s_andn2_b64 s[22:23], s[22:23], exec
	s_and_b64 s[76:77], s[76:77], exec
	s_or_b64 s[22:23], s[22:23], s[76:77]
.LBB4_161:                              ;   in Loop: Header=BB4_93 Depth=3
	s_or_b64 exec, exec, s[74:75]
	v_cmp_eq_u32_e32 vcc, 0, v24
	s_xor_b64 s[22:23], s[22:23], -1
	v_cndmask_b32_e32 v24, 0, v52, vcc
	v_cndmask_b32_e64 v4, 0, 1, s[22:23]
	s_mov_b64 s[76:77], -1
	v_cmp_ne_u32_e32 vcc, 0, v4
	v_mov_b32_e32 v25, 0
	v_mov_b32_e32 v33, v24
	;; [unrolled: 1-line block ×4, first 2 shown]
	s_cbranch_vccz .LBB4_164
; %bb.162:                              ;   in Loop: Header=BB4_93 Depth=3
	s_and_saveexec_b64 s[22:23], s[76:77]
	s_cbranch_execnz .LBB4_177
	s_branch .LBB4_185
.LBB4_163:                              ;   in Loop: Header=BB4_93 Depth=3
	s_mov_b64 s[22:23], 0
	s_and_saveexec_b64 s[74:75], s[6:7]
	s_cbranch_execnz .LBB4_186
	s_branch .LBB4_204
.LBB4_164:                              ;   in Loop: Header=BB4_93 Depth=3
	v_ashrrev_i32_e32 v4, 31, v24
	v_lshrrev_b32_e32 v4, 20, v4
	v_add_u32_e32 v4, v24, v4
	v_ashrrev_i32_e32 v25, 12, v4
	v_sub_u32_e32 v46, v25, v36
	v_cmp_lt_i32_e32 vcc, 0, v46
	s_and_saveexec_b64 s[22:23], vcc
	s_cbranch_execz .LBB4_168
; %bb.165:                              ;   in Loop: Header=BB4_93 Depth=3
	v_mov_b32_e32 v43, v41
	v_mov_b32_e32 v44, v53
	s_mov_b64 s[74:75], 0
	v_mov_b32_e32 v42, v40
	v_mov_b32_e32 v45, v54
.LBB4_166:                              ;   Parent Loop BB4_53 Depth=1
                                        ;     Parent Loop BB4_89 Depth=2
                                        ;       Parent Loop BB4_93 Depth=3
                                        ; =>      This Inner Loop Header: Depth=4
	v_add_co_u32_e32 v4, vcc, v38, v44
	v_addc_co_u32_e32 v5, vcc, v39, v45, vcc
	global_load_dwordx4 v[26:29], v[4:5], off glc slc
	global_load_dwordx4 v[55:58], v[4:5], off offset:1024 glc slc
	global_load_dwordx4 v[59:62], v[4:5], off offset:2048 glc slc
	s_nop 0
	global_load_dwordx4 v[4:7], v[4:5], off offset:3072 glc slc
	v_add_co_u32_e32 v18, vcc, v38, v42
	v_addc_co_u32_e32 v19, vcc, v39, v43, vcc
	v_add_co_u32_e32 v44, vcc, v44, v15
	v_addc_co_u32_e32 v45, vcc, 0, v45, vcc
	v_add_co_u32_e32 v42, vcc, v42, v15
	v_sub_u32_e32 v46, v46, v14
	v_addc_co_u32_e32 v43, vcc, 0, v43, vcc
	v_cmp_gt_i32_e32 vcc, 1, v46
	s_or_b64 s[74:75], vcc, s[74:75]
	s_waitcnt vmcnt(0)
	global_store_dwordx4 v[18:19], v[26:29], off glc slc
	global_store_dwordx4 v[18:19], v[55:58], off offset:1024 glc slc
	global_store_dwordx4 v[18:19], v[59:62], off offset:2048 glc slc
	;; [unrolled: 1-line block ×3, first 2 shown]
	s_andn2_b64 exec, exec, s[74:75]
	s_cbranch_execnz .LBB4_166
; %bb.167:                              ;   in Loop: Header=BB4_93 Depth=3
	s_or_b64 exec, exec, s[74:75]
	buffer_load_dword v59, off, s[0:3], s33 offset:60 ; 4-byte Folded Reload
	buffer_load_dword v60, off, s[0:3], s33 offset:64 ; 4-byte Folded Reload
	;; [unrolled: 1-line block ×4, first 2 shown]
	v_ashrrev_i32_e32 v29, 31, v12
.LBB4_168:                              ;   in Loop: Header=BB4_93 Depth=3
	s_or_b64 exec, exec, s[22:23]
	v_lshlrev_b32_e32 v42, 12, v25
	v_cmp_ne_u32_e32 vcc, v24, v42
	s_mov_b64 s[76:77], 0
	v_mov_b32_e32 v25, 0
                                        ; implicit-def: $vgpr33
                                        ; implicit-def: $vgpr55
                                        ; implicit-def: $vgpr45
	s_and_saveexec_b64 s[74:75], vcc
	s_cbranch_execz .LBB4_176
; %bb.169:                              ;   in Loop: Header=BB4_93 Depth=3
	buffer_load_dword v6, off, s[0:3], s33 offset:76 ; 4-byte Folded Reload
	v_lshlrev_b32_e32 v5, 6, v46
	v_sub_u32_e32 v4, v24, v42
	s_waitcnt vmcnt(0)
	v_sub_u32_e32 v5, v6, v5
	v_ashrrev_i32_e32 v6, 31, v5
	v_lshrrev_b32_e32 v6, 26, v6
	v_add_u32_e32 v6, v5, v6
	v_ashrrev_i32_e32 v7, 6, v6
	v_and_b32_e32 v6, 0xffffffc0, v6
	v_sub_u32_e32 v43, v5, v6
	v_lshlrev_b32_e32 v5, 4, v43
	v_lshl_add_u32 v33, v7, 10, v5
	v_ashrrev_i32_e32 v5, 31, v4
	v_lshrrev_b32_e32 v5, 22, v5
	v_add_u32_e32 v5, v4, v5
	v_and_b32_e32 v44, 0xfffffc00, v5
	v_sub_u32_e32 v47, v4, v44
	v_ashrrev_i32_e32 v6, 10, v5
	v_cmp_lt_i32_e32 vcc, 15, v47
	v_sub_u32_e32 v25, v4, v33
	v_addc_co_u32_e64 v4, s[22:23], 0, v6, vcc
	v_sub_u32_e32 v46, v4, v7
	v_cmp_lt_i32_e64 s[22:23], 15, v25
	s_and_saveexec_b64 s[76:77], s[22:23]
	s_cbranch_execz .LBB4_173
; %bb.170:                              ;   in Loop: Header=BB4_93 Depth=3
	v_add_u32_e32 v33, v33, v42
	v_ashrrev_i32_e32 v55, 31, v33
	s_mov_b64 s[78:79], 0
.LBB4_171:                              ;   Parent Loop BB4_53 Depth=1
                                        ;     Parent Loop BB4_89 Depth=2
                                        ;       Parent Loop BB4_93 Depth=3
                                        ; =>      This Inner Loop Header: Depth=4
	v_add_co_u32_e64 v4, s[22:23], v53, v33
	v_addc_co_u32_e64 v5, s[22:23], v54, v55, s[22:23]
	global_load_dwordx4 v[4:7], v[4:5], off glc slc
	v_add_co_u32_e64 v18, s[22:23], v40, v33
	v_addc_co_u32_e64 v19, s[22:23], v41, v55, s[22:23]
	v_add_co_u32_e64 v33, s[22:23], v33, v34
	v_sub_u32_e32 v25, v25, v34
	v_addc_co_u32_e64 v55, s[22:23], 0, v55, s[22:23]
	v_cmp_gt_i32_e64 s[22:23], 16, v25
	v_sub_u32_e32 v46, v46, v14
	s_or_b64 s[78:79], s[22:23], s[78:79]
	s_waitcnt vmcnt(0)
	global_store_dwordx4 v[18:19], v[4:7], off glc slc
	s_andn2_b64 exec, exec, s[78:79]
	s_cbranch_execnz .LBB4_171
; %bb.172:                              ;   in Loop: Header=BB4_93 Depth=3
	s_or_b64 exec, exec, s[78:79]
.LBB4_173:                              ;   in Loop: Header=BB4_93 Depth=3
	s_or_b64 exec, exec, s[76:77]
	v_and_b32_e32 v56, 15, v24
	v_cndmask_b32_e32 v33, v47, v56, vcc
	v_mov_b32_e32 v25, 0
	v_cmp_ne_u32_e64 s[22:23], 0, v33
	s_mov_b64 s[78:79], 0
                                        ; implicit-def: $vgpr55
                                        ; implicit-def: $vgpr45
	s_and_saveexec_b64 s[76:77], s[22:23]
	s_cbranch_execz .LBB4_175
; %bb.174:                              ;   in Loop: Header=BB4_93 Depth=3
	v_sub_u32_e32 v4, v47, v56
	v_cndmask_b32_e32 v4, 0, v4, vcc
	v_cmp_lt_i32_e32 vcc, 0, v46
	v_add3_u32 v25, v44, v42, v4
	v_cndmask_b32_e32 v4, 0, v14, vcc
	v_sub_u32_e32 v4, v4, v46
	v_lshl_add_u32 v55, v4, 6, v43
	v_ashrrev_i32_e32 v4, 31, v55
	v_lshrrev_b32_e32 v4, 26, v4
	v_add_u32_e32 v4, v55, v4
	v_ashrrev_i32_e32 v45, 6, v4
	s_mov_b64 s[78:79], exec
.LBB4_175:                              ;   in Loop: Header=BB4_93 Depth=3
	s_or_b64 exec, exec, s[76:77]
	s_and_b64 s[76:77], s[78:79], exec
.LBB4_176:                              ;   in Loop: Header=BB4_93 Depth=3
	s_or_b64 exec, exec, s[74:75]
	s_and_saveexec_b64 s[22:23], s[76:77]
	s_cbranch_execz .LBB4_185
.LBB4_177:                              ;   in Loop: Header=BB4_93 Depth=3
	v_ashrrev_i32_e32 v4, 31, v33
	v_lshrrev_b32_e32 v4, 22, v4
	v_add_u32_e32 v4, v33, v4
	v_ashrrev_i32_e32 v44, 10, v4
	v_sub_u32_e32 v42, v44, v45
	v_ashrrev_i32_e32 v4, 31, v55
	v_cmp_lt_i32_e32 vcc, 0, v42
	v_lshrrev_b32_e32 v43, 26, v4
	s_and_saveexec_b64 s[74:75], vcc
	s_cbranch_execz .LBB4_181
; %bb.178:                              ;   in Loop: Header=BB4_93 Depth=3
	v_add_u32_e32 v4, v55, v43
	v_and_b32_e32 v4, 0xffffffc0, v4
	v_sub_u32_e32 v4, v55, v4
	v_lshlrev_b32_e32 v5, 10, v45
	v_add3_u32 v45, v25, v4, v5
	v_ashrrev_i32_e32 v46, 31, v45
	s_mov_b64 s[76:77], 0
.LBB4_179:                              ;   Parent Loop BB4_53 Depth=1
                                        ;     Parent Loop BB4_89 Depth=2
                                        ;       Parent Loop BB4_93 Depth=3
                                        ; =>      This Inner Loop Header: Depth=4
	v_add_co_u32_e32 v4, vcc, v45, v53
	v_addc_co_u32_e32 v5, vcc, v46, v54, vcc
	flat_load_ubyte v6, v[4:5] glc slc
	flat_load_ubyte v7, v[4:5] offset:64 glc slc
	flat_load_ubyte v18, v[4:5] offset:128 glc slc
	;; [unrolled: 1-line block ×13, first 2 shown]
	s_waitcnt vmcnt(0)
	flat_load_ubyte v59, v[4:5] offset:896 glc slc
	flat_load_ubyte v60, v[4:5] offset:960 glc slc
	v_add_co_u32_e32 v4, vcc, v45, v40
	v_addc_co_u32_e32 v5, vcc, v46, v41, vcc
	v_add_co_u32_e32 v53, vcc, v53, v34
	v_addc_co_u32_e32 v54, vcc, 0, v54, vcc
	v_add_co_u32_e32 v40, vcc, v40, v34
	v_sub_u32_e32 v42, v42, v14
	v_addc_co_u32_e32 v41, vcc, 0, v41, vcc
	v_cmp_gt_i32_e32 vcc, 1, v42
	s_or_b64 s[76:77], vcc, s[76:77]
	s_waitcnt lgkmcnt(0)
	flat_store_byte v[4:5], v6 glc slc
	flat_store_byte v[4:5], v7 offset:64 glc slc
	flat_store_byte v[4:5], v18 offset:128 glc slc
	;; [unrolled: 1-line block ×13, first 2 shown]
	s_waitcnt vmcnt(0)
	flat_store_byte v[4:5], v59 offset:896 glc slc
	flat_store_byte v[4:5], v60 offset:960 glc slc
	s_andn2_b64 exec, exec, s[76:77]
	s_cbranch_execnz .LBB4_179
; %bb.180:                              ;   in Loop: Header=BB4_93 Depth=3
	s_or_b64 exec, exec, s[76:77]
	buffer_load_dword v59, off, s[0:3], s33 offset:60 ; 4-byte Folded Reload
	buffer_load_dword v60, off, s[0:3], s33 offset:64 ; 4-byte Folded Reload
	;; [unrolled: 1-line block ×4, first 2 shown]
	v_ashrrev_i32_e32 v29, 31, v12
.LBB4_181:                              ;   in Loop: Header=BB4_93 Depth=3
	s_or_b64 exec, exec, s[74:75]
	v_lshlrev_b32_e32 v53, 10, v44
	v_cmp_ne_u32_e32 vcc, v33, v53
	s_and_b64 exec, exec, vcc
	s_cbranch_execz .LBB4_185
; %bb.182:                              ;   in Loop: Header=BB4_93 Depth=3
	v_add_u32_e32 v4, v55, v43
	v_and_b32_e32 v4, 0xffffffc0, v4
	v_sub_u32_e32 v4, v55, v4
	v_lshlrev_b32_e32 v5, 6, v42
	v_sub_u32_e32 v4, v4, v5
	v_add_u32_e32 v53, v53, v4
	v_sub_u32_e32 v33, v33, v53
	v_cmp_lt_i32_e32 vcc, 0, v33
	s_and_b64 exec, exec, vcc
	s_cbranch_execz .LBB4_185
; %bb.183:                              ;   in Loop: Header=BB4_93 Depth=3
	v_add_u32_e32 v25, v53, v25
	s_trap 2
	ds_read_b64 v[53:54], v0
	v_ashrrev_i32_e32 v55, 31, v25
	s_mov_b64 s[74:75], 0
.LBB4_184:                              ;   Parent Loop BB4_53 Depth=1
                                        ;     Parent Loop BB4_89 Depth=2
                                        ;       Parent Loop BB4_93 Depth=3
                                        ; =>      This Inner Loop Header: Depth=4
	s_waitcnt lgkmcnt(0)
	v_add_co_u32_e32 v4, vcc, v53, v25
	v_addc_co_u32_e32 v5, vcc, v54, v55, vcc
	flat_load_ubyte v6, v[4:5] glc slc
	v_add_co_u32_e32 v25, vcc, v25, v3
	v_sub_u32_e32 v33, v33, v3
	v_addc_co_u32_e32 v55, vcc, 0, v55, vcc
	v_cmp_gt_i32_e32 vcc, 1, v33
	s_or_b64 s[74:75], vcc, s[74:75]
	s_waitcnt vmcnt(0) lgkmcnt(0)
	flat_store_byte v[4:5], v6 glc slc
	s_andn2_b64 exec, exec, s[74:75]
	s_cbranch_execnz .LBB4_184
.LBB4_185:                              ;   in Loop: Header=BB4_93 Depth=3
	s_or_b64 exec, exec, s[22:23]
	v_cmp_lt_i32_e64 s[22:23], 0, v24
	s_and_saveexec_b64 s[74:75], s[6:7]
	s_cbranch_execz .LBB4_204
.LBB4_186:                              ;   in Loop: Header=BB4_93 Depth=3
	s_and_saveexec_b64 s[76:77], s[28:29]
	s_xor_b64 s[76:77], exec, s[76:77]
	s_cbranch_execz .LBB4_201
; %bb.187:                              ;   in Loop: Header=BB4_93 Depth=3
	s_and_saveexec_b64 s[78:79], s[12:13]
	s_cbranch_execz .LBB4_200
; %bb.188:                              ;   in Loop: Header=BB4_93 Depth=3
	s_mov_b64 s[90:91], exec
	v_mbcnt_lo_u32_b32 v4, s90, 0
	v_mbcnt_hi_u32_b32 v4, s91, v4
	v_cmp_eq_u32_e32 vcc, 0, v4
	s_waitcnt vmcnt(0) lgkmcnt(0)
	buffer_wbinvl1_vol
	s_and_saveexec_b64 s[88:89], vcc
	s_cbranch_execz .LBB4_190
; %bb.189:                              ;   in Loop: Header=BB4_93 Depth=3
	s_bcnt1_i32_b64 s90, s[90:91]
	v_mov_b32_e32 v4, s90
	v_mov_b32_e32 v5, v32
	ds_add_u64 v0, v[4:5]
	s_trap 2
.LBB4_190:                              ;   in Loop: Header=BB4_93 Depth=3
	s_or_b64 exec, exec, s[88:89]
	s_trap 2
	ds_read_b64 v[4:5], v0
	s_waitcnt lgkmcnt(0)
	v_add_co_u32_e32 v10, vcc, v10, v14
	v_addc_co_u32_e32 v11, vcc, 0, v11, vcc
	v_cmp_lt_u64_e32 vcc, v[4:5], v[10:11]
	s_and_saveexec_b64 s[88:89], vcc
	s_cbranch_execz .LBB4_199
; %bb.191:                              ;   in Loop: Header=BB4_93 Depth=3
	s_mov_b32 s36, 0
	s_mov_b64 s[90:91], 0
                                        ; implicit-def: $sgpr92_sgpr93
                                        ; implicit-def: $sgpr94_sgpr95
	s_branch .LBB4_193
.LBB4_192:                              ;   in Loop: Header=BB4_193 Depth=4
	s_or_b64 exec, exec, s[34:35]
	s_and_b64 vcc, exec, vcc
	s_or_b64 s[90:91], vcc, s[90:91]
	s_andn2_b64 s[92:93], s[92:93], exec
	s_and_b64 vcc, s[94:95], exec
	s_or_b64 s[92:93], s[92:93], vcc
	s_andn2_b64 exec, exec, s[90:91]
	s_cbranch_execz .LBB4_197
.LBB4_193:                              ;   Parent Loop BB4_53 Depth=1
                                        ;     Parent Loop BB4_89 Depth=2
                                        ;       Parent Loop BB4_93 Depth=3
                                        ; =>      This Inner Loop Header: Depth=4
	s_add_i32 s36, s36, 1
	s_cmpk_lg_i32 s36, 0x2710
	s_cselect_b64 s[30:31], -1, 0
	s_and_b64 vcc, exec, s[30:31]
	s_cbranch_vccz .LBB4_195
; %bb.194:                              ;   in Loop: Header=BB4_193 Depth=4
	s_mov_b64 vcc, -1
	s_or_b64 s[94:95], s[94:95], exec
	s_and_saveexec_b64 s[34:35], s[30:31]
	s_cbranch_execz .LBB4_192
	s_branch .LBB4_196
.LBB4_195:                              ;   in Loop: Header=BB4_193 Depth=4
	s_trap 2
	ds_read_b64 v[4:5], v0
	s_andn2_b64 s[30:31], s[30:31], exec
	s_mov_b32 s36, 0
	s_waitcnt lgkmcnt(0)
	flat_load_dword v4, v[4:5] glc
	s_waitcnt vmcnt(0) lgkmcnt(0)
	buffer_wbinvl1_vol
	v_cmp_eq_u32_e32 vcc, 0, v4
	s_and_b64 vcc, vcc, exec
	s_or_b64 s[30:31], s[30:31], vcc
	s_mov_b64 vcc, -1
	s_or_b64 s[94:95], s[94:95], exec
	s_and_saveexec_b64 s[34:35], s[30:31]
	s_cbranch_execz .LBB4_192
.LBB4_196:                              ;   in Loop: Header=BB4_193 Depth=4
	s_sleep 1
	s_trap 2
	ds_read_b64 v[4:5], v0
	s_waitcnt lgkmcnt(0)
	s_andn2_b64 s[94:95], s[94:95], exec
	v_cmp_ge_u64_e32 vcc, v[4:5], v[10:11]
	s_orn2_b64 vcc, vcc, exec
	s_branch .LBB4_192
.LBB4_197:                              ;   in Loop: Header=BB4_93 Depth=3
	s_or_b64 exec, exec, s[90:91]
	s_and_saveexec_b64 s[90:91], s[92:93]
	s_xor_b64 s[90:91], exec, s[90:91]
	s_cbranch_execz .LBB4_199
; %bb.198:                              ;   in Loop: Header=BB4_93 Depth=3
	ds_write_b32 v0, v31
	s_trap 2
.LBB4_199:                              ;   in Loop: Header=BB4_93 Depth=3
	s_or_b64 exec, exec, s[88:89]
	;;#ASMSTART
	s_wakeup
	;;#ASMEND
.LBB4_200:                              ;   in Loop: Header=BB4_93 Depth=3
	s_or_b64 exec, exec, s[78:79]
.LBB4_201:                              ;   in Loop: Header=BB4_93 Depth=3
	s_andn2_saveexec_b64 s[76:77], s[76:77]
	s_cbranch_execz .LBB4_203
; %bb.202:                              ;   in Loop: Header=BB4_93 Depth=3
	s_waitcnt vmcnt(0) lgkmcnt(0)
	buffer_wbinvl1_vol
	s_barrier
.LBB4_203:                              ;   in Loop: Header=BB4_93 Depth=3
	s_or_b64 exec, exec, s[76:77]
.LBB4_204:                              ;   in Loop: Header=BB4_93 Depth=3
	s_or_b64 exec, exec, s[74:75]
	v_and_b32_e32 v24, 16, v13
	v_cmp_ne_u32_e32 vcc, 0, v24
	s_and_b64 s[74:75], vcc, s[22:23]
	s_and_saveexec_b64 s[22:23], s[74:75]
	s_cbranch_execz .LBB4_206
; %bb.205:                              ;   in Loop: Header=BB4_93 Depth=3
	s_waitcnt vmcnt(0) lgkmcnt(0)
	buffer_wbinvl1_vol
.LBB4_206:                              ;   in Loop: Header=BB4_93 Depth=3
	s_or_b64 exec, exec, s[22:23]
	v_cmp_ne_u32_e32 vcc, 0, v24
	s_and_saveexec_b64 s[22:23], vcc
	s_cbranch_execz .LBB4_92
; %bb.207:                              ;   in Loop: Header=BB4_93 Depth=3
	s_and_saveexec_b64 s[74:75], s[20:21]
	s_cbranch_execz .LBB4_91
; %bb.208:                              ;   in Loop: Header=BB4_93 Depth=3
	flat_store_dword v[1:2], v31
	s_branch .LBB4_91
.LBB4_209:                              ;   in Loop: Header=BB4_89 Depth=2
	s_or_b64 exec, exec, s[60:61]
	v_cmp_gt_i32_e32 vcc, 2, v24
	s_and_saveexec_b64 s[60:61], vcc
	s_cbranch_execz .LBB4_260
.LBB4_210:                              ;   in Loop: Header=BB4_89 Depth=2
	v_cmp_eq_u32_e64 s[72:73], 0, v24
	s_mov_b64 s[62:63], 0
	s_branch .LBB4_213
.LBB4_211:                              ;   in Loop: Header=BB4_213 Depth=3
	s_or_b64 exec, exec, s[72:73]
	v_add_co_u32_e32 v48, vcc, 2, v48
	v_addc_co_u32_e32 v49, vcc, 0, v49, vcc
	flat_store_dwordx2 v[16:17], v[48:49]
.LBB4_212:                              ;   in Loop: Header=BB4_213 Depth=3
	s_or_b64 exec, exec, s[22:23]
	v_add_u32_e32 v9, v52, v9
	s_mov_b64 s[72:73], 0
	s_andn2_b64 exec, exec, s[62:63]
	s_cbranch_execz .LBB4_261
.LBB4_213:                              ;   Parent Loop BB4_53 Depth=1
                                        ;     Parent Loop BB4_89 Depth=2
                                        ; =>    This Loop Header: Depth=3
                                        ;         Child Loop BB4_219 Depth 4
                                        ;         Child Loop BB4_243 Depth 4
	v_sub_u32_e32 v4, v8, v9
	v_min_i32_e32 v52, v52, v4
	v_and_b32_e32 v4, 8, v13
	v_cmp_ne_u32_e32 vcc, 0, v4
	s_and_saveexec_b64 s[74:75], vcc
	s_cbranch_execz .LBB4_235
; %bb.214:                              ;   in Loop: Header=BB4_213 Depth=3
	s_waitcnt vmcnt(0)
	v_add_co_u32_e32 v4, vcc, 8, v22
	v_addc_co_u32_e32 v5, vcc, 0, v23, vcc
	v_add_co_u32_e32 v54, vcc, 2, v48
	v_addc_co_u32_e32 v55, vcc, 0, v49, vcc
	v_cmp_lt_u64_e32 vcc, v[4:5], v[54:55]
	s_and_saveexec_b64 s[76:77], vcc
	s_cbranch_execz .LBB4_226
; %bb.215:                              ;   in Loop: Header=BB4_213 Depth=3
	v_and_b32_e32 v4, 64, v13
	s_mov_b32 s55, 0
	v_cmp_eq_u32_e32 vcc, 0, v4
	s_mov_b64 s[78:79], 0
                                        ; implicit-def: $sgpr88_sgpr89
                                        ; implicit-def: $sgpr90_sgpr91
                                        ; implicit-def: $sgpr92_sgpr93
	s_branch .LBB4_219
.LBB4_216:                              ;   in Loop: Header=BB4_219 Depth=4
	s_waitcnt vmcnt(0) lgkmcnt(0)
	v_add_co_u32_e64 v4, s[22:23], 8, v22
	v_addc_co_u32_e64 v5, s[22:23], 0, v23, s[22:23]
	v_cmp_ge_u64_e64 s[22:23], v[4:5], v[54:55]
	s_or_b64 s[34:35], s[34:35], exec
	s_orn2_b64 s[30:31], s[22:23], exec
.LBB4_217:                              ;   in Loop: Header=BB4_219 Depth=4
	s_or_b64 exec, exec, s[38:39]
	s_andn2_b64 s[22:23], s[92:93], exec
	s_and_b64 s[92:93], s[34:35], exec
	s_or_b64 s[92:93], s[22:23], s[92:93]
	s_andn2_b64 s[22:23], s[90:91], exec
	s_and_b64 s[90:91], s[30:31], exec
	s_or_b64 s[90:91], s[22:23], s[90:91]
.LBB4_218:                              ;   in Loop: Header=BB4_219 Depth=4
	s_or_b64 exec, exec, s[94:95]
	s_and_b64 s[22:23], exec, s[90:91]
	s_or_b64 s[78:79], s[22:23], s[78:79]
	s_andn2_b64 s[22:23], s[88:89], exec
	s_and_b64 s[88:89], s[92:93], exec
	s_or_b64 s[88:89], s[22:23], s[88:89]
	s_andn2_b64 exec, exec, s[78:79]
	s_cbranch_execz .LBB4_223
.LBB4_219:                              ;   Parent Loop BB4_53 Depth=1
                                        ;     Parent Loop BB4_89 Depth=2
                                        ;       Parent Loop BB4_213 Depth=3
                                        ; =>      This Inner Loop Header: Depth=4
	s_sleep 1
	s_waitcnt vmcnt(0) lgkmcnt(0)
	flat_load_dwordx2 v[22:23], v[16:17] glc
	s_or_b64 s[92:93], s[92:93], exec
	s_or_b64 s[90:91], s[90:91], exec
                                        ; implicit-def: $vgpr24
	s_and_saveexec_b64 s[94:95], vcc
	s_cbranch_execz .LBB4_218
; %bb.220:                              ;   in Loop: Header=BB4_219 Depth=4
	s_cmpk_lt_i32 s55, 0x270f
	s_cselect_b64 s[36:37], -1, 0
	s_cmpk_gt_i32 s55, 0x270e
	s_mov_b64 s[30:31], -1
	s_cbranch_scc0 .LBB4_222
; %bb.221:                              ;   in Loop: Header=BB4_219 Depth=4
	s_trap 2
	ds_read_b64 v[4:5], v0
	s_andn2_b64 s[36:37], s[36:37], exec
	s_mov_b32 s55, 0
	s_mov_b64 s[34:35], 0
	s_waitcnt vmcnt(0) lgkmcnt(0)
	flat_load_dword v24, v[4:5] glc
	s_waitcnt vmcnt(0) lgkmcnt(0)
	buffer_wbinvl1_vol
	v_cmp_eq_u32_e64 s[22:23], 0, v24
	s_and_b64 s[22:23], s[22:23], exec
	s_or_b64 s[36:37], s[36:37], s[22:23]
	s_and_saveexec_b64 s[38:39], s[36:37]
	s_cbranch_execz .LBB4_217
	s_branch .LBB4_216
.LBB4_222:                              ;   in Loop: Header=BB4_219 Depth=4
	s_add_i32 s55, s55, 1
	s_mov_b64 s[34:35], -1
                                        ; implicit-def: $vgpr24
	s_and_saveexec_b64 s[38:39], s[36:37]
	s_cbranch_execz .LBB4_217
	s_branch .LBB4_216
.LBB4_223:                              ;   in Loop: Header=BB4_213 Depth=3
	s_or_b64 exec, exec, s[78:79]
	s_xor_b64 s[22:23], s[88:89], -1
	s_and_saveexec_b64 s[78:79], s[22:23]
	s_xor_b64 s[22:23], exec, s[78:79]
	s_cbranch_execz .LBB4_225
; %bb.224:                              ;   in Loop: Header=BB4_213 Depth=3
	v_or_b32_e32 v13, 64, v13
	s_waitcnt lgkmcnt(0)
	ds_write_b32 v0, v24
	s_trap 2
.LBB4_225:                              ;   in Loop: Header=BB4_213 Depth=3
	s_or_b64 exec, exec, s[22:23]
.LBB4_226:                              ;   in Loop: Header=BB4_213 Depth=3
	s_or_b64 exec, exec, s[76:77]
	v_and_b32_e32 v4, 0x100, v13
	v_cmp_ne_u32_e32 vcc, 0, v4
	v_and_b32_e32 v24, 7, v48
	s_mov_b64 s[22:23], -1
	;;#ASMSTART
	s_wakeup
	;;#ASMEND
                                        ; implicit-def: $vgpr48_vgpr49
	s_and_saveexec_b64 s[76:77], vcc
	s_cbranch_execz .LBB4_230
; %bb.227:                              ;   in Loop: Header=BB4_213 Depth=3
	v_mad_u64_u32 v[40:41], s[22:23], v24, 24, v[59:60]
	v_ashrrev_i32_e32 v53, 31, v52
                                        ; implicit-def: $vgpr48_vgpr49
	flat_load_dword v4, v[40:41]
	s_nop 0
	flat_store_dwordx2 v[40:41], v[52:53] offset:8
	s_waitcnt vmcnt(0) lgkmcnt(0)
	v_cmp_ne_u32_e32 vcc, 1, v4
	v_cmp_eq_u32_e64 s[22:23], 1, v4
	s_and_saveexec_b64 s[78:79], s[22:23]
	s_cbranch_execz .LBB4_229
; %bb.228:                              ;   in Loop: Header=BB4_213 Depth=3
	flat_load_dword v48, v[40:41] offset:4 glc
	s_waitcnt vmcnt(0) lgkmcnt(0)
	v_ashrrev_i32_e32 v49, 31, v48
.LBB4_229:                              ;   in Loop: Header=BB4_213 Depth=3
	s_or_b64 exec, exec, s[78:79]
	s_orn2_b64 s[22:23], vcc, exec
.LBB4_230:                              ;   in Loop: Header=BB4_213 Depth=3
	s_or_b64 exec, exec, s[76:77]
	s_and_saveexec_b64 s[76:77], s[22:23]
; %bb.231:                              ;   in Loop: Header=BB4_213 Depth=3
	v_mad_i64_i32 v[48:49], s[22:23], v24, v12, 0
; %bb.232:                              ;   in Loop: Header=BB4_213 Depth=3
	s_or_b64 exec, exec, s[76:77]
	v_add_co_u32_e32 v4, vcc, v50, v48
	v_addc_co_u32_e32 v5, vcc, v51, v49, vcc
	ds_write_b64 v0, v[4:5] offset:784
	v_and_b32_e32 v4, 0x2000, v13
	v_cmp_ne_u32_e32 vcc, 0, v4
	s_and_saveexec_b64 s[22:23], vcc
	s_cbranch_execz .LBB4_234
; %bb.233:                              ;   in Loop: Header=BB4_213 Depth=3
	ds_read_b64 v[4:5], v0 offset:872
	s_waitcnt lgkmcnt(0)
	v_add_co_u32_e32 v4, vcc, 1, v4
	v_addc_co_u32_e32 v5, vcc, 0, v5, vcc
	ds_write_b64 v0, v[4:5] offset:872
.LBB4_234:                              ;   in Loop: Header=BB4_213 Depth=3
	s_or_b64 exec, exec, s[22:23]
	v_mov_b32_e32 v48, v54
	v_mov_b32_e32 v49, v55
.LBB4_235:                              ;   in Loop: Header=BB4_213 Depth=3
	s_or_b64 exec, exec, s[74:75]
	s_xor_b64 s[22:23], s[72:73], -1
	s_and_b64 s[22:23], exec, s[22:23]
	s_or_b64 s[62:63], s[22:23], s[62:63]
	s_and_saveexec_b64 s[22:23], s[6:7]
	s_cbranch_execz .LBB4_254
; %bb.236:                              ;   in Loop: Header=BB4_213 Depth=3
	s_and_saveexec_b64 s[72:73], s[28:29]
	s_xor_b64 s[72:73], exec, s[72:73]
	s_cbranch_execz .LBB4_251
; %bb.237:                              ;   in Loop: Header=BB4_213 Depth=3
	s_and_saveexec_b64 s[74:75], s[12:13]
	s_cbranch_execz .LBB4_250
; %bb.238:                              ;   in Loop: Header=BB4_213 Depth=3
	s_mov_b64 s[78:79], exec
	v_mbcnt_lo_u32_b32 v4, s78, 0
	v_mbcnt_hi_u32_b32 v4, s79, v4
	v_cmp_eq_u32_e32 vcc, 0, v4
	s_waitcnt vmcnt(0) lgkmcnt(0)
	buffer_wbinvl1_vol
	s_and_saveexec_b64 s[76:77], vcc
	s_cbranch_execz .LBB4_240
; %bb.239:                              ;   in Loop: Header=BB4_213 Depth=3
	s_bcnt1_i32_b64 s78, s[78:79]
	v_mov_b32_e32 v4, s78
	v_mov_b32_e32 v5, v32
	ds_add_u64 v0, v[4:5]
	s_trap 2
.LBB4_240:                              ;   in Loop: Header=BB4_213 Depth=3
	s_or_b64 exec, exec, s[76:77]
	s_trap 2
	ds_read_b64 v[4:5], v0
	s_waitcnt lgkmcnt(0)
	v_add_co_u32_e32 v10, vcc, v10, v14
	v_addc_co_u32_e32 v11, vcc, 0, v11, vcc
	v_cmp_lt_u64_e32 vcc, v[4:5], v[10:11]
	s_and_saveexec_b64 s[76:77], vcc
	s_cbranch_execz .LBB4_249
; %bb.241:                              ;   in Loop: Header=BB4_213 Depth=3
	s_mov_b32 s30, 0
	s_mov_b64 s[78:79], 0
                                        ; implicit-def: $sgpr88_sgpr89
                                        ; implicit-def: $sgpr90_sgpr91
	s_branch .LBB4_243
.LBB4_242:                              ;   in Loop: Header=BB4_243 Depth=4
	s_or_b64 exec, exec, s[94:95]
	s_and_b64 s[92:93], exec, vcc
	s_or_b64 s[78:79], s[92:93], s[78:79]
	s_andn2_b64 s[88:89], s[88:89], exec
	s_and_b64 s[92:93], s[90:91], exec
	s_or_b64 s[88:89], s[88:89], s[92:93]
	s_andn2_b64 exec, exec, s[78:79]
	s_cbranch_execz .LBB4_247
.LBB4_243:                              ;   Parent Loop BB4_53 Depth=1
                                        ;     Parent Loop BB4_89 Depth=2
                                        ;       Parent Loop BB4_213 Depth=3
                                        ; =>      This Inner Loop Header: Depth=4
	s_add_i32 s30, s30, 1
	s_cmpk_lg_i32 s30, 0x2710
	s_cselect_b64 s[92:93], -1, 0
	s_and_b64 vcc, exec, s[92:93]
	s_cbranch_vccz .LBB4_245
; %bb.244:                              ;   in Loop: Header=BB4_243 Depth=4
	s_mov_b64 vcc, -1
	s_or_b64 s[90:91], s[90:91], exec
	s_and_saveexec_b64 s[94:95], s[92:93]
	s_cbranch_execz .LBB4_242
	s_branch .LBB4_246
.LBB4_245:                              ;   in Loop: Header=BB4_243 Depth=4
	s_trap 2
	ds_read_b64 v[4:5], v0
	s_andn2_b64 s[92:93], s[92:93], exec
	s_mov_b32 s30, 0
	s_waitcnt lgkmcnt(0)
	flat_load_dword v4, v[4:5] glc
	s_waitcnt vmcnt(0) lgkmcnt(0)
	buffer_wbinvl1_vol
	v_cmp_eq_u32_e32 vcc, 0, v4
	s_and_b64 s[94:95], vcc, exec
	s_or_b64 s[92:93], s[92:93], s[94:95]
	s_mov_b64 vcc, -1
	s_or_b64 s[90:91], s[90:91], exec
	s_and_saveexec_b64 s[94:95], s[92:93]
	s_cbranch_execz .LBB4_242
.LBB4_246:                              ;   in Loop: Header=BB4_243 Depth=4
	s_sleep 1
	s_trap 2
	ds_read_b64 v[4:5], v0
	s_waitcnt lgkmcnt(0)
	s_andn2_b64 s[90:91], s[90:91], exec
	v_cmp_ge_u64_e32 vcc, v[4:5], v[10:11]
	s_orn2_b64 vcc, vcc, exec
	s_branch .LBB4_242
.LBB4_247:                              ;   in Loop: Header=BB4_213 Depth=3
	s_or_b64 exec, exec, s[78:79]
	s_and_saveexec_b64 s[78:79], s[88:89]
	s_xor_b64 s[78:79], exec, s[78:79]
	s_cbranch_execz .LBB4_249
; %bb.248:                              ;   in Loop: Header=BB4_213 Depth=3
	ds_write_b32 v0, v31
	s_trap 2
.LBB4_249:                              ;   in Loop: Header=BB4_213 Depth=3
	s_or_b64 exec, exec, s[76:77]
	;;#ASMSTART
	s_wakeup
	;;#ASMEND
.LBB4_250:                              ;   in Loop: Header=BB4_213 Depth=3
	s_or_b64 exec, exec, s[74:75]
.LBB4_251:                              ;   in Loop: Header=BB4_213 Depth=3
	s_andn2_saveexec_b64 s[72:73], s[72:73]
	s_cbranch_execz .LBB4_253
; %bb.252:                              ;   in Loop: Header=BB4_213 Depth=3
	s_waitcnt vmcnt(0) lgkmcnt(0)
	buffer_wbinvl1_vol
	s_barrier
.LBB4_253:                              ;   in Loop: Header=BB4_213 Depth=3
	s_or_b64 exec, exec, s[72:73]
.LBB4_254:                              ;   in Loop: Header=BB4_213 Depth=3
	s_or_b64 exec, exec, s[22:23]
	s_trap 2
	ds_read_b32 v4, v0
	v_cmp_lt_i32_e32 vcc, 0, v52
	v_and_b32_e32 v24, 16, v13
	s_waitcnt lgkmcnt(0)
	v_readfirstlane_b32 s22, v4
	s_cmp_eq_u32 s22, 0
	s_cselect_b64 s[22:23], -1, 0
	s_and_b64 s[22:23], vcc, s[22:23]
	v_cmp_ne_u32_e32 vcc, 0, v24
	s_and_b64 s[72:73], vcc, s[22:23]
	s_and_saveexec_b64 s[22:23], s[72:73]
	s_cbranch_execz .LBB4_256
; %bb.255:                              ;   in Loop: Header=BB4_213 Depth=3
	s_waitcnt vmcnt(0)
	buffer_wbinvl1_vol
.LBB4_256:                              ;   in Loop: Header=BB4_213 Depth=3
	s_or_b64 exec, exec, s[22:23]
	v_cmp_ne_u32_e32 vcc, 0, v24
	s_and_saveexec_b64 s[22:23], vcc
	s_cbranch_execz .LBB4_212
; %bb.257:                              ;   in Loop: Header=BB4_213 Depth=3
	s_and_saveexec_b64 s[72:73], s[20:21]
	s_cbranch_execz .LBB4_211
; %bb.258:                              ;   in Loop: Header=BB4_213 Depth=3
	flat_store_dword v[1:2], v31
	s_branch .LBB4_211
.LBB4_259:                              ;   in Loop: Header=BB4_89 Depth=2
	s_or_b64 exec, exec, s[62:63]
	s_or_b64 exec, exec, s[60:61]
	v_cmp_gt_i32_e32 vcc, 2, v24
	s_and_saveexec_b64 s[60:61], vcc
	s_cbranch_execnz .LBB4_210
.LBB4_260:                              ;   in Loop: Header=BB4_89 Depth=2
	s_or_b64 exec, exec, s[60:61]
	s_andn2_b64 vcc, exec, s[56:57]
	s_cbranch_vccz .LBB4_262
	s_branch .LBB4_444
.LBB4_261:                              ;   in Loop: Header=BB4_89 Depth=2
	s_or_b64 exec, exec, s[62:63]
	s_or_b64 exec, exec, s[60:61]
	s_andn2_b64 vcc, exec, s[56:57]
	s_cbranch_vccnz .LBB4_444
.LBB4_262:                              ;   in Loop: Header=BB4_89 Depth=2
	v_max_i32_e32 v44, 0, v8
	v_add_u32_e32 v4, 31, v44
	v_lshrrev_b32_e32 v4, 1, v4
	v_and_b32_e32 v4, 0x3ffffff0, v4
	s_mov_b32 s55, 0
	v_max_i32_e32 v45, s51, v4
	s_branch .LBB4_265
.LBB4_263:                              ;   in Loop: Header=BB4_265 Depth=3
	s_or_b64 exec, exec, s[62:63]
.LBB4_264:                              ;   in Loop: Header=BB4_265 Depth=3
	s_or_b64 exec, exec, s[60:61]
	s_add_i32 s55, s55, 1
	s_cmp_eq_u32 s55, s49
	s_cbranch_scc1 .LBB4_444
.LBB4_265:                              ;   Parent Loop BB4_53 Depth=1
                                        ;     Parent Loop BB4_89 Depth=2
                                        ; =>    This Loop Header: Depth=3
                                        ;         Child Loop BB4_268 Depth 4
                                        ;           Child Loop BB4_276 Depth 5
                                        ;           Child Loop BB4_304 Depth 5
	;; [unrolled: 1-line block ×8, first 2 shown]
                                        ;         Child Loop BB4_393 Depth 4
                                        ;           Child Loop BB4_399 Depth 5
                                        ;           Child Loop BB4_427 Depth 5
	v_mov_b32_e32 v9, 0
	v_mov_b32_e32 v8, v45
	;; [unrolled: 1-line block ×3, first 2 shown]
	s_and_saveexec_b64 s[60:61], s[58:59]
	s_cbranch_execz .LBB4_390
; %bb.266:                              ;   in Loop: Header=BB4_265 Depth=3
	s_mov_b32 s64, 1
	s_mov_b64 s[72:73], -1
	v_mov_b32_e32 v46, 0
	s_mov_b64 s[62:63], 0
	v_mov_b32_e32 v8, v45
	s_branch .LBB4_268
.LBB4_267:                              ;   in Loop: Header=BB4_268 Depth=4
	s_or_b64 exec, exec, s[22:23]
	v_add_u32_e32 v46, v8, v46
	v_cmp_ge_i32_e32 vcc, v46, v44
	s_xor_b64 s[22:23], s[72:73], -1
	s_or_b64 s[22:23], s[22:23], vcc
	s_and_b64 s[22:23], exec, s[22:23]
	s_or_b64 s[62:63], s[22:23], s[62:63]
	s_mov_b64 s[72:73], 0
	v_mov_b32_e32 v9, s64
	s_mov_b32 s64, 2
	s_andn2_b64 exec, exec, s[62:63]
	s_cbranch_execz .LBB4_389
.LBB4_268:                              ;   Parent Loop BB4_53 Depth=1
                                        ;     Parent Loop BB4_89 Depth=2
                                        ;       Parent Loop BB4_265 Depth=3
                                        ; =>      This Loop Header: Depth=4
                                        ;           Child Loop BB4_276 Depth 5
                                        ;           Child Loop BB4_304 Depth 5
                                        ;           Child Loop BB4_323 Depth 5
                                        ;           Child Loop BB4_345 Depth 5
                                        ;           Child Loop BB4_350 Depth 5
                                        ;           Child Loop BB4_358 Depth 5
                                        ;           Child Loop BB4_363 Depth 5
                                        ;           Child Loop BB4_372 Depth 5
	s_and_saveexec_b64 s[22:23], s[4:5]
	s_cbranch_execz .LBB4_270
; %bb.269:                              ;   in Loop: Header=BB4_268 Depth=4
	v_mov_b32_e32 v33, v32
	ds_write_b64 v0, v[32:33]
	s_trap 2
.LBB4_270:                              ;   in Loop: Header=BB4_268 Depth=4
	s_or_b64 exec, exec, s[22:23]
	v_sub_u32_e32 v4, v44, v46
	v_min_i32_e32 v8, v8, v4
	v_and_b32_e32 v4, 12, v13
	v_cmp_ne_u32_e32 vcc, 0, v4
	s_and_saveexec_b64 s[74:75], vcc
	s_cbranch_execz .LBB4_296
; %bb.271:                              ;   in Loop: Header=BB4_268 Depth=4
	v_and_b32_e32 v24, 8, v13
	s_waitcnt vmcnt(0)
	v_add_co_u32_e32 v4, vcc, v22, v24
	v_addc_co_u32_e32 v5, vcc, 0, v23, vcc
	v_add_co_u32_e32 v52, vcc, 2, v48
	v_addc_co_u32_e32 v53, vcc, 0, v49, vcc
	v_cmp_lt_u64_e32 vcc, v[4:5], v[52:53]
	s_and_saveexec_b64 s[76:77], vcc
	s_cbranch_execz .LBB4_283
; %bb.272:                              ;   in Loop: Header=BB4_268 Depth=4
	v_and_b32_e32 v4, 64, v13
	s_mov_b32 s65, 0
	v_cmp_eq_u32_e32 vcc, 0, v4
	s_mov_b64 s[78:79], 0
                                        ; implicit-def: $sgpr88_sgpr89
                                        ; implicit-def: $sgpr90_sgpr91
                                        ; implicit-def: $sgpr92_sgpr93
	s_branch .LBB4_276
.LBB4_273:                              ;   in Loop: Header=BB4_276 Depth=5
	s_waitcnt vmcnt(0) lgkmcnt(0)
	v_add_co_u32_e64 v4, s[22:23], v22, v24
	v_addc_co_u32_e64 v5, s[22:23], 0, v23, s[22:23]
	v_cmp_ge_u64_e64 s[22:23], v[4:5], v[52:53]
	s_or_b64 s[34:35], s[34:35], exec
	s_orn2_b64 s[30:31], s[22:23], exec
.LBB4_274:                              ;   in Loop: Header=BB4_276 Depth=5
	s_or_b64 exec, exec, s[38:39]
	s_andn2_b64 s[22:23], s[92:93], exec
	s_and_b64 s[92:93], s[34:35], exec
	s_or_b64 s[92:93], s[22:23], s[92:93]
	s_andn2_b64 s[22:23], s[90:91], exec
	s_and_b64 s[90:91], s[30:31], exec
	s_or_b64 s[90:91], s[22:23], s[90:91]
.LBB4_275:                              ;   in Loop: Header=BB4_276 Depth=5
	s_or_b64 exec, exec, s[94:95]
	s_and_b64 s[22:23], exec, s[90:91]
	s_or_b64 s[78:79], s[22:23], s[78:79]
	s_andn2_b64 s[22:23], s[88:89], exec
	s_and_b64 s[88:89], s[92:93], exec
	s_or_b64 s[88:89], s[22:23], s[88:89]
	s_andn2_b64 exec, exec, s[78:79]
	s_cbranch_execz .LBB4_280
.LBB4_276:                              ;   Parent Loop BB4_53 Depth=1
                                        ;     Parent Loop BB4_89 Depth=2
                                        ;       Parent Loop BB4_265 Depth=3
                                        ;         Parent Loop BB4_268 Depth=4
                                        ; =>        This Inner Loop Header: Depth=5
	s_sleep 1
	s_waitcnt vmcnt(0) lgkmcnt(0)
	flat_load_dwordx2 v[22:23], v[16:17] glc
	s_or_b64 s[92:93], s[92:93], exec
	s_or_b64 s[90:91], s[90:91], exec
                                        ; implicit-def: $vgpr9
	s_and_saveexec_b64 s[94:95], vcc
	s_cbranch_execz .LBB4_275
; %bb.277:                              ;   in Loop: Header=BB4_276 Depth=5
	s_cmpk_lt_i32 s65, 0x270f
	s_cselect_b64 s[36:37], -1, 0
	s_cmpk_gt_i32 s65, 0x270e
	s_mov_b64 s[30:31], -1
	s_cbranch_scc0 .LBB4_279
; %bb.278:                              ;   in Loop: Header=BB4_276 Depth=5
	s_trap 2
	ds_read_b64 v[4:5], v0
	s_andn2_b64 s[36:37], s[36:37], exec
	s_mov_b32 s65, 0
	s_mov_b64 s[34:35], 0
	s_waitcnt vmcnt(0) lgkmcnt(0)
	flat_load_dword v9, v[4:5] glc
	s_waitcnt vmcnt(0) lgkmcnt(0)
	buffer_wbinvl1_vol
	v_cmp_eq_u32_e64 s[22:23], 0, v9
	s_and_b64 s[22:23], s[22:23], exec
	s_or_b64 s[36:37], s[36:37], s[22:23]
	s_and_saveexec_b64 s[38:39], s[36:37]
	s_cbranch_execz .LBB4_274
	s_branch .LBB4_273
.LBB4_279:                              ;   in Loop: Header=BB4_276 Depth=5
	s_add_i32 s65, s65, 1
	s_mov_b64 s[34:35], -1
                                        ; implicit-def: $vgpr9
	s_and_saveexec_b64 s[38:39], s[36:37]
	s_cbranch_execz .LBB4_274
	s_branch .LBB4_273
.LBB4_280:                              ;   in Loop: Header=BB4_268 Depth=4
	s_or_b64 exec, exec, s[78:79]
	s_xor_b64 s[22:23], s[88:89], -1
	s_and_saveexec_b64 s[78:79], s[22:23]
	s_xor_b64 s[22:23], exec, s[78:79]
	s_cbranch_execz .LBB4_282
; %bb.281:                              ;   in Loop: Header=BB4_268 Depth=4
	v_or_b32_e32 v13, 64, v13
	s_waitcnt lgkmcnt(0)
	ds_write_b32 v0, v9
	s_trap 2
.LBB4_282:                              ;   in Loop: Header=BB4_268 Depth=4
	s_or_b64 exec, exec, s[22:23]
.LBB4_283:                              ;   in Loop: Header=BB4_268 Depth=4
	s_or_b64 exec, exec, s[76:77]
	v_and_b32_e32 v4, 0x108, v13
	v_cmp_ne_u32_e32 vcc, s54, v4
	v_and_b32_e32 v25, 7, v48
	;;#ASMSTART
	s_wakeup
	;;#ASMEND
	s_and_saveexec_b64 s[22:23], vcc
	s_xor_b64 s[22:23], exec, s[22:23]
                                        ; implicit-def: $vgpr33
; %bb.284:                              ;   in Loop: Header=BB4_268 Depth=4
	v_mov_b32_e32 v33, v32
; %bb.285:                              ;   in Loop: Header=BB4_268 Depth=4
	s_andn2_saveexec_b64 s[22:23], s[22:23]
	s_cbranch_execz .LBB4_287
; %bb.286:                              ;   in Loop: Header=BB4_268 Depth=4
	v_mad_u64_u32 v[4:5], s[76:77], v25, 24, v[59:60]
	v_mov_b32_e32 v33, v32
	v_ashrrev_i32_e32 v9, 31, v8
	flat_store_dwordx2 v[4:5], v[8:9] offset:8
.LBB4_287:                              ;   in Loop: Header=BB4_268 Depth=4
	s_or_b64 exec, exec, s[22:23]
	v_and_b32_e32 v4, 0x100, v13
	v_cmp_ne_u32_e32 vcc, 0, v4
	s_mov_b64 s[22:23], -1
                                        ; implicit-def: $vgpr48_vgpr49
	s_and_saveexec_b64 s[76:77], vcc
	s_cbranch_execz .LBB4_291
; %bb.288:                              ;   in Loop: Header=BB4_268 Depth=4
	v_mad_u64_u32 v[54:55], s[22:23], v25, 24, v[59:60]
                                        ; implicit-def: $vgpr48_vgpr49
	v_mov_b32_e32 v4, v55
	v_mad_u64_u32 v[4:5], s[22:23], v33, 24, v[4:5]
	v_mov_b32_e32 v55, v4
	flat_load_dword v4, v[54:55]
	s_waitcnt vmcnt(0) lgkmcnt(0)
	v_cmp_ne_u32_e32 vcc, 1, v4
	v_cmp_eq_u32_e64 s[22:23], 1, v4
	s_and_saveexec_b64 s[78:79], s[22:23]
	s_cbranch_execz .LBB4_290
; %bb.289:                              ;   in Loop: Header=BB4_268 Depth=4
	flat_load_dword v48, v[54:55] offset:4 glc
	s_waitcnt vmcnt(0) lgkmcnt(0)
	v_ashrrev_i32_e32 v49, 31, v48
.LBB4_290:                              ;   in Loop: Header=BB4_268 Depth=4
	s_or_b64 exec, exec, s[78:79]
	s_orn2_b64 s[22:23], vcc, exec
.LBB4_291:                              ;   in Loop: Header=BB4_268 Depth=4
	s_or_b64 exec, exec, s[76:77]
	s_and_saveexec_b64 s[76:77], s[22:23]
	s_cbranch_execz .LBB4_293
; %bb.292:                              ;   in Loop: Header=BB4_268 Depth=4
	v_mul_lo_u32 v4, v33, v12
	v_mul_lo_u32 v5, v25, v29
	v_mad_u64_u32 v[48:49], s[22:23], v25, v12, 0
	v_add3_u32 v49, v49, v5, v4
.LBB4_293:                              ;   in Loop: Header=BB4_268 Depth=4
	s_or_b64 exec, exec, s[76:77]
	v_cmp_eq_u32_e32 vcc, 0, v24
	v_cndmask_b32_e32 v6, v30, v35, vcc
	v_add_co_u32_e32 v4, vcc, v50, v48
	v_addc_co_u32_e32 v5, vcc, v51, v49, vcc
	v_add_u32_e32 v6, v0, v6
	ds_write_b64 v6, v[4:5] offset:584
	v_and_b32_e32 v4, 0x2000, v13
	v_cmp_ne_u32_e32 vcc, 0, v4
	s_and_saveexec_b64 s[22:23], vcc
	s_cbranch_execz .LBB4_295
; %bb.294:                              ;   in Loop: Header=BB4_268 Depth=4
	ds_read_b64 v[4:5], v0 offset:872
	s_waitcnt lgkmcnt(0)
	v_add_co_u32_e32 v4, vcc, 1, v4
	v_addc_co_u32_e32 v5, vcc, 0, v5, vcc
	ds_write_b64 v0, v[4:5] offset:872
.LBB4_295:                              ;   in Loop: Header=BB4_268 Depth=4
	s_or_b64 exec, exec, s[22:23]
	v_mov_b32_e32 v48, v52
	v_mov_b32_e32 v49, v53
.LBB4_296:                              ;   in Loop: Header=BB4_268 Depth=4
	s_or_b64 exec, exec, s[74:75]
	s_and_saveexec_b64 s[22:23], s[6:7]
	s_cbranch_execz .LBB4_315
; %bb.297:                              ;   in Loop: Header=BB4_268 Depth=4
	s_and_saveexec_b64 s[74:75], s[28:29]
	s_xor_b64 s[74:75], exec, s[74:75]
	s_cbranch_execz .LBB4_312
; %bb.298:                              ;   in Loop: Header=BB4_268 Depth=4
	s_and_saveexec_b64 s[76:77], s[12:13]
	s_cbranch_execz .LBB4_311
; %bb.299:                              ;   in Loop: Header=BB4_268 Depth=4
	s_mov_b64 s[88:89], exec
	v_mbcnt_lo_u32_b32 v4, s88, 0
	v_mbcnt_hi_u32_b32 v4, s89, v4
	v_cmp_eq_u32_e32 vcc, 0, v4
	s_waitcnt vmcnt(0) lgkmcnt(0)
	buffer_wbinvl1_vol
	s_and_saveexec_b64 s[78:79], vcc
	s_cbranch_execz .LBB4_301
; %bb.300:                              ;   in Loop: Header=BB4_268 Depth=4
	s_bcnt1_i32_b64 s88, s[88:89]
	v_mov_b32_e32 v4, s88
	v_mov_b32_e32 v5, v32
	ds_add_u64 v0, v[4:5]
	s_trap 2
.LBB4_301:                              ;   in Loop: Header=BB4_268 Depth=4
	s_or_b64 exec, exec, s[78:79]
	s_trap 2
	ds_read_b64 v[4:5], v0
	s_waitcnt lgkmcnt(0)
	v_add_co_u32_e32 v10, vcc, v10, v14
	v_addc_co_u32_e32 v11, vcc, 0, v11, vcc
	v_cmp_lt_u64_e32 vcc, v[4:5], v[10:11]
	s_and_saveexec_b64 s[78:79], vcc
	s_cbranch_execz .LBB4_310
; %bb.302:                              ;   in Loop: Header=BB4_268 Depth=4
	s_mov_b32 s34, 0
	s_mov_b64 s[88:89], 0
                                        ; implicit-def: $sgpr90_sgpr91
                                        ; implicit-def: $sgpr92_sgpr93
	s_branch .LBB4_304
.LBB4_303:                              ;   in Loop: Header=BB4_304 Depth=5
	s_or_b64 exec, exec, s[30:31]
	s_and_b64 s[94:95], exec, vcc
	s_or_b64 s[88:89], s[94:95], s[88:89]
	s_andn2_b64 s[90:91], s[90:91], exec
	s_and_b64 s[94:95], s[92:93], exec
	s_or_b64 s[90:91], s[90:91], s[94:95]
	s_andn2_b64 exec, exec, s[88:89]
	s_cbranch_execz .LBB4_308
.LBB4_304:                              ;   Parent Loop BB4_53 Depth=1
                                        ;     Parent Loop BB4_89 Depth=2
                                        ;       Parent Loop BB4_265 Depth=3
                                        ;         Parent Loop BB4_268 Depth=4
                                        ; =>        This Inner Loop Header: Depth=5
	s_add_i32 s34, s34, 1
	s_cmpk_lg_i32 s34, 0x2710
	s_cselect_b64 s[94:95], -1, 0
	s_and_b64 vcc, exec, s[94:95]
	s_cbranch_vccz .LBB4_306
; %bb.305:                              ;   in Loop: Header=BB4_304 Depth=5
	s_mov_b64 vcc, -1
	s_or_b64 s[92:93], s[92:93], exec
	s_and_saveexec_b64 s[30:31], s[94:95]
	s_cbranch_execz .LBB4_303
	s_branch .LBB4_307
.LBB4_306:                              ;   in Loop: Header=BB4_304 Depth=5
	s_trap 2
	ds_read_b64 v[4:5], v0
	s_andn2_b64 s[94:95], s[94:95], exec
	s_mov_b32 s34, 0
	s_waitcnt lgkmcnt(0)
	flat_load_dword v4, v[4:5] glc
	s_waitcnt vmcnt(0) lgkmcnt(0)
	buffer_wbinvl1_vol
	v_cmp_eq_u32_e32 vcc, 0, v4
	s_and_b64 vcc, vcc, exec
	s_or_b64 s[94:95], s[94:95], vcc
	s_mov_b64 vcc, -1
	s_or_b64 s[92:93], s[92:93], exec
	s_and_saveexec_b64 s[30:31], s[94:95]
	s_cbranch_execz .LBB4_303
.LBB4_307:                              ;   in Loop: Header=BB4_304 Depth=5
	s_sleep 1
	s_trap 2
	ds_read_b64 v[4:5], v0
	s_waitcnt lgkmcnt(0)
	s_andn2_b64 s[92:93], s[92:93], exec
	v_cmp_ge_u64_e32 vcc, v[4:5], v[10:11]
	s_orn2_b64 vcc, vcc, exec
	s_branch .LBB4_303
.LBB4_308:                              ;   in Loop: Header=BB4_268 Depth=4
	s_or_b64 exec, exec, s[88:89]
	s_and_saveexec_b64 s[88:89], s[90:91]
	s_xor_b64 s[88:89], exec, s[88:89]
	s_cbranch_execz .LBB4_310
; %bb.309:                              ;   in Loop: Header=BB4_268 Depth=4
	ds_write_b32 v0, v31
	s_trap 2
.LBB4_310:                              ;   in Loop: Header=BB4_268 Depth=4
	s_or_b64 exec, exec, s[78:79]
	;;#ASMSTART
	s_wakeup
	;;#ASMEND
.LBB4_311:                              ;   in Loop: Header=BB4_268 Depth=4
	s_or_b64 exec, exec, s[76:77]
.LBB4_312:                              ;   in Loop: Header=BB4_268 Depth=4
	s_andn2_saveexec_b64 s[74:75], s[74:75]
	s_cbranch_execz .LBB4_314
; %bb.313:                              ;   in Loop: Header=BB4_268 Depth=4
	s_waitcnt vmcnt(0) lgkmcnt(0)
	buffer_wbinvl1_vol
	s_barrier
.LBB4_314:                              ;   in Loop: Header=BB4_268 Depth=4
	s_or_b64 exec, exec, s[74:75]
.LBB4_315:                              ;   in Loop: Header=BB4_268 Depth=4
	s_or_b64 exec, exec, s[22:23]
	s_trap 2
	ds_read_b32 v9, v0
	v_and_b32_e32 v4, 0x4000, v13
	v_cmp_ne_u32_e32 vcc, 0, v4
	s_xor_b64 s[22:23], s[14:15], -1
	s_and_b64 s[74:75], s[22:23], vcc
	s_and_saveexec_b64 s[22:23], s[74:75]
	s_cbranch_execz .LBB4_334
; %bb.316:                              ;   in Loop: Header=BB4_268 Depth=4
	s_and_saveexec_b64 s[74:75], s[28:29]
	s_xor_b64 s[74:75], exec, s[74:75]
	s_cbranch_execz .LBB4_331
; %bb.317:                              ;   in Loop: Header=BB4_268 Depth=4
	s_and_saveexec_b64 s[76:77], s[12:13]
	s_cbranch_execz .LBB4_330
; %bb.318:                              ;   in Loop: Header=BB4_268 Depth=4
	s_mov_b64 s[88:89], exec
	v_mbcnt_lo_u32_b32 v4, s88, 0
	v_mbcnt_hi_u32_b32 v4, s89, v4
	v_cmp_eq_u32_e32 vcc, 0, v4
	s_waitcnt vmcnt(0) lgkmcnt(0)
	buffer_wbinvl1_vol
	s_and_saveexec_b64 s[78:79], vcc
	s_cbranch_execz .LBB4_320
; %bb.319:                              ;   in Loop: Header=BB4_268 Depth=4
	s_bcnt1_i32_b64 s88, s[88:89]
	v_mov_b32_e32 v4, s88
	v_mov_b32_e32 v5, v32
	ds_add_u64 v0, v[4:5]
	s_trap 2
.LBB4_320:                              ;   in Loop: Header=BB4_268 Depth=4
	s_or_b64 exec, exec, s[78:79]
	s_trap 2
	ds_read_b64 v[4:5], v0
	s_waitcnt lgkmcnt(0)
	v_add_co_u32_e32 v10, vcc, v10, v14
	v_addc_co_u32_e32 v11, vcc, 0, v11, vcc
	v_cmp_lt_u64_e32 vcc, v[4:5], v[10:11]
	s_and_saveexec_b64 s[78:79], vcc
	s_cbranch_execz .LBB4_329
; %bb.321:                              ;   in Loop: Header=BB4_268 Depth=4
	s_mov_b32 s34, 0
	s_mov_b64 s[88:89], 0
                                        ; implicit-def: $sgpr90_sgpr91
                                        ; implicit-def: $sgpr92_sgpr93
	s_branch .LBB4_323
.LBB4_322:                              ;   in Loop: Header=BB4_323 Depth=5
	s_or_b64 exec, exec, s[30:31]
	s_and_b64 s[94:95], exec, vcc
	s_or_b64 s[88:89], s[94:95], s[88:89]
	s_andn2_b64 s[90:91], s[90:91], exec
	s_and_b64 s[94:95], s[92:93], exec
	s_or_b64 s[90:91], s[90:91], s[94:95]
	s_andn2_b64 exec, exec, s[88:89]
	s_cbranch_execz .LBB4_327
.LBB4_323:                              ;   Parent Loop BB4_53 Depth=1
                                        ;     Parent Loop BB4_89 Depth=2
                                        ;       Parent Loop BB4_265 Depth=3
                                        ;         Parent Loop BB4_268 Depth=4
                                        ; =>        This Inner Loop Header: Depth=5
	s_add_i32 s34, s34, 1
	s_cmpk_lg_i32 s34, 0x2710
	s_cselect_b64 s[94:95], -1, 0
	s_and_b64 vcc, exec, s[94:95]
	s_cbranch_vccz .LBB4_325
; %bb.324:                              ;   in Loop: Header=BB4_323 Depth=5
	s_mov_b64 vcc, -1
	s_or_b64 s[92:93], s[92:93], exec
	s_and_saveexec_b64 s[30:31], s[94:95]
	s_cbranch_execz .LBB4_322
	s_branch .LBB4_326
.LBB4_325:                              ;   in Loop: Header=BB4_323 Depth=5
	s_trap 2
	ds_read_b64 v[4:5], v0
	s_andn2_b64 s[94:95], s[94:95], exec
	s_mov_b32 s34, 0
	s_waitcnt lgkmcnt(0)
	flat_load_dword v4, v[4:5] glc
	s_waitcnt vmcnt(0) lgkmcnt(0)
	buffer_wbinvl1_vol
	v_cmp_eq_u32_e32 vcc, 0, v4
	s_and_b64 vcc, vcc, exec
	s_or_b64 s[94:95], s[94:95], vcc
	s_mov_b64 vcc, -1
	s_or_b64 s[92:93], s[92:93], exec
	s_and_saveexec_b64 s[30:31], s[94:95]
	s_cbranch_execz .LBB4_322
.LBB4_326:                              ;   in Loop: Header=BB4_323 Depth=5
	s_sleep 1
	s_trap 2
	ds_read_b64 v[4:5], v0
	s_waitcnt lgkmcnt(0)
	s_andn2_b64 s[92:93], s[92:93], exec
	v_cmp_ge_u64_e32 vcc, v[4:5], v[10:11]
	s_orn2_b64 vcc, vcc, exec
	s_branch .LBB4_322
.LBB4_327:                              ;   in Loop: Header=BB4_268 Depth=4
	s_or_b64 exec, exec, s[88:89]
	s_and_saveexec_b64 s[88:89], s[90:91]
	s_xor_b64 s[88:89], exec, s[88:89]
	s_cbranch_execz .LBB4_329
; %bb.328:                              ;   in Loop: Header=BB4_268 Depth=4
	ds_write_b32 v0, v31
	s_trap 2
.LBB4_329:                              ;   in Loop: Header=BB4_268 Depth=4
	s_or_b64 exec, exec, s[78:79]
	;;#ASMSTART
	s_wakeup
	;;#ASMEND
.LBB4_330:                              ;   in Loop: Header=BB4_268 Depth=4
	s_or_b64 exec, exec, s[76:77]
.LBB4_331:                              ;   in Loop: Header=BB4_268 Depth=4
	s_andn2_saveexec_b64 s[74:75], s[74:75]
	s_cbranch_execz .LBB4_333
; %bb.332:                              ;   in Loop: Header=BB4_268 Depth=4
	s_waitcnt vmcnt(0) lgkmcnt(0)
	buffer_wbinvl1_vol
	s_barrier
.LBB4_333:                              ;   in Loop: Header=BB4_268 Depth=4
	s_or_b64 exec, exec, s[74:75]
.LBB4_334:                              ;   in Loop: Header=BB4_268 Depth=4
	s_or_b64 exec, exec, s[22:23]
	s_trap 2
	ds_read_b64 v[52:53], v0
	s_waitcnt lgkmcnt(0)
	v_cmp_eq_u64_e32 vcc, 0, v[52:53]
	s_cbranch_vccnz .LBB4_342
; %bb.335:                              ;   in Loop: Header=BB4_268 Depth=4
	s_trap 2
	ds_read_b64 v[54:55], v0
	s_waitcnt lgkmcnt(0)
	v_cmp_eq_u64_e32 vcc, 0, v[54:55]
	s_cbranch_vccnz .LBB4_342
; %bb.336:                              ;   in Loop: Header=BB4_268 Depth=4
	s_mov_b64 s[22:23], -1
	s_and_saveexec_b64 s[74:75], s[16:17]
	s_cbranch_execz .LBB4_338
; %bb.337:                              ;   in Loop: Header=BB4_268 Depth=4
	ds_read_b32 v4, v0 offset:720
	s_waitcnt lgkmcnt(0)
	v_and_b32_e32 v4, 15, v4
	v_cmp_eq_u32_e32 vcc, 0, v4
	s_orn2_b64 s[22:23], vcc, exec
.LBB4_338:                              ;   in Loop: Header=BB4_268 Depth=4
	s_or_b64 exec, exec, s[74:75]
	s_and_saveexec_b64 s[74:75], s[16:17]
	s_cbranch_execz .LBB4_340
; %bb.339:                              ;   in Loop: Header=BB4_268 Depth=4
	ds_read_b32 v4, v0 offset:784
	s_waitcnt lgkmcnt(0)
	v_and_b32_e32 v4, 15, v4
	v_cmp_eq_u32_e32 vcc, 0, v4
	s_and_b64 s[76:77], s[22:23], vcc
	s_andn2_b64 s[22:23], s[22:23], exec
	s_and_b64 s[76:77], s[76:77], exec
	s_or_b64 s[22:23], s[22:23], s[76:77]
.LBB4_340:                              ;   in Loop: Header=BB4_268 Depth=4
	s_or_b64 exec, exec, s[74:75]
	v_cmp_eq_u32_e32 vcc, 0, v9
	s_xor_b64 s[22:23], s[22:23], -1
	v_cndmask_b32_e32 v9, 0, v8, vcc
	v_cndmask_b32_e64 v4, 0, 1, s[22:23]
	s_mov_b64 s[76:77], -1
	v_cmp_ne_u32_e32 vcc, 0, v4
	v_mov_b32_e32 v24, 0
	v_mov_b32_e32 v25, v9
	v_mov_b32_e32 v33, v0
	v_mov_b32_e32 v43, v36
	s_cbranch_vccz .LBB4_343
; %bb.341:                              ;   in Loop: Header=BB4_268 Depth=4
	s_and_saveexec_b64 s[22:23], s[76:77]
	s_cbranch_execnz .LBB4_356
	s_branch .LBB4_364
.LBB4_342:                              ;   in Loop: Header=BB4_268 Depth=4
	s_mov_b64 s[22:23], 0
	s_and_saveexec_b64 s[74:75], s[6:7]
	s_cbranch_execnz .LBB4_365
	s_branch .LBB4_383
.LBB4_343:                              ;   in Loop: Header=BB4_268 Depth=4
	v_ashrrev_i32_e32 v4, 31, v9
	v_lshrrev_b32_e32 v4, 20, v4
	v_add_u32_e32 v4, v9, v4
	v_ashrrev_i32_e32 v24, 12, v4
	v_sub_u32_e32 v47, v24, v36
	v_cmp_lt_i32_e32 vcc, 0, v47
	s_and_saveexec_b64 s[22:23], vcc
	s_cbranch_execz .LBB4_347
; %bb.344:                              ;   in Loop: Header=BB4_268 Depth=4
	v_mov_b32_e32 v40, v54
	v_mov_b32_e32 v42, v52
	s_mov_b64 s[74:75], 0
	v_mov_b32_e32 v41, v55
	v_mov_b32_e32 v43, v53
.LBB4_345:                              ;   Parent Loop BB4_53 Depth=1
                                        ;     Parent Loop BB4_89 Depth=2
                                        ;       Parent Loop BB4_265 Depth=3
                                        ;         Parent Loop BB4_268 Depth=4
                                        ; =>        This Inner Loop Header: Depth=5
	v_add_co_u32_e32 v56, vcc, v38, v42
	v_addc_co_u32_e32 v57, vcc, v39, v43, vcc
	global_load_dwordx4 v[4:7], v[56:57], off glc slc
	global_load_dwordx4 v[18:21], v[56:57], off offset:1024 glc slc
	global_load_dwordx4 v[25:28], v[56:57], off offset:2048 glc slc
	s_nop 0
	global_load_dwordx4 v[56:59], v[56:57], off offset:3072 glc slc
	s_waitcnt vmcnt(0)
	v_add_co_u32_e32 v60, vcc, v38, v40
	v_addc_co_u32_e32 v61, vcc, v39, v41, vcc
	v_add_co_u32_e32 v42, vcc, v42, v15
	v_addc_co_u32_e32 v43, vcc, 0, v43, vcc
	v_add_co_u32_e32 v40, vcc, v40, v15
	v_sub_u32_e32 v47, v47, v14
	v_addc_co_u32_e32 v41, vcc, 0, v41, vcc
	v_cmp_gt_i32_e32 vcc, 1, v47
	s_or_b64 s[74:75], vcc, s[74:75]
	global_store_dwordx4 v[60:61], v[4:7], off glc slc
	global_store_dwordx4 v[60:61], v[18:21], off offset:1024 glc slc
	global_store_dwordx4 v[60:61], v[25:28], off offset:2048 glc slc
	;; [unrolled: 1-line block ×3, first 2 shown]
	s_andn2_b64 exec, exec, s[74:75]
	s_cbranch_execnz .LBB4_345
; %bb.346:                              ;   in Loop: Header=BB4_268 Depth=4
	s_or_b64 exec, exec, s[74:75]
	buffer_load_dword v59, off, s[0:3], s33 offset:60 ; 4-byte Folded Reload
	buffer_load_dword v60, off, s[0:3], s33 offset:64 ; 4-byte Folded Reload
	buffer_load_dword v61, off, s[0:3], s33 offset:68 ; 4-byte Folded Reload
	buffer_load_dword v62, off, s[0:3], s33 offset:72 ; 4-byte Folded Reload
.LBB4_347:                              ;   in Loop: Header=BB4_268 Depth=4
	s_or_b64 exec, exec, s[22:23]
	v_lshlrev_b32_e32 v40, 12, v24
	v_cmp_ne_u32_e32 vcc, v9, v40
	s_mov_b64 s[76:77], 0
	v_mov_b32_e32 v24, 0
                                        ; implicit-def: $vgpr25
                                        ; implicit-def: $vgpr33
                                        ; implicit-def: $vgpr43
	s_and_saveexec_b64 s[74:75], vcc
	s_cbranch_execz .LBB4_355
; %bb.348:                              ;   in Loop: Header=BB4_268 Depth=4
	buffer_load_dword v6, off, s[0:3], s33 offset:76 ; 4-byte Folded Reload
	v_lshlrev_b32_e32 v5, 6, v47
	v_sub_u32_e32 v4, v9, v40
	s_waitcnt vmcnt(0)
	v_sub_u32_e32 v5, v6, v5
	v_ashrrev_i32_e32 v6, 31, v5
	v_lshrrev_b32_e32 v6, 26, v6
	v_add_u32_e32 v6, v5, v6
	v_ashrrev_i32_e32 v7, 6, v6
	v_and_b32_e32 v6, 0xffffffc0, v6
	v_sub_u32_e32 v41, v5, v6
	v_lshlrev_b32_e32 v5, 4, v41
	v_lshl_add_u32 v25, v7, 10, v5
	v_ashrrev_i32_e32 v5, 31, v4
	v_lshrrev_b32_e32 v5, 22, v5
	v_add_u32_e32 v5, v4, v5
	v_and_b32_e32 v42, 0xfffffc00, v5
	v_sub_u32_e32 v56, v4, v42
	v_ashrrev_i32_e32 v6, 10, v5
	v_cmp_lt_i32_e32 vcc, 15, v56
	v_sub_u32_e32 v24, v4, v25
	v_addc_co_u32_e64 v4, s[22:23], 0, v6, vcc
	v_sub_u32_e32 v47, v4, v7
	v_cmp_lt_i32_e64 s[22:23], 15, v24
	s_and_saveexec_b64 s[76:77], s[22:23]
	s_cbranch_execz .LBB4_352
; %bb.349:                              ;   in Loop: Header=BB4_268 Depth=4
	v_add_u32_e32 v25, v25, v40
	v_ashrrev_i32_e32 v33, 31, v25
	s_mov_b64 s[78:79], 0
.LBB4_350:                              ;   Parent Loop BB4_53 Depth=1
                                        ;     Parent Loop BB4_89 Depth=2
                                        ;       Parent Loop BB4_265 Depth=3
                                        ;         Parent Loop BB4_268 Depth=4
                                        ; =>        This Inner Loop Header: Depth=5
	v_add_co_u32_e64 v4, s[22:23], v52, v25
	v_addc_co_u32_e64 v5, s[22:23], v53, v33, s[22:23]
	global_load_dwordx4 v[4:7], v[4:5], off glc slc
	v_add_co_u32_e64 v18, s[22:23], v54, v25
	v_addc_co_u32_e64 v19, s[22:23], v55, v33, s[22:23]
	v_add_co_u32_e64 v25, s[22:23], v25, v34
	v_sub_u32_e32 v24, v24, v34
	v_addc_co_u32_e64 v33, s[22:23], 0, v33, s[22:23]
	v_cmp_gt_i32_e64 s[22:23], 16, v24
	v_sub_u32_e32 v47, v47, v14
	s_or_b64 s[78:79], s[22:23], s[78:79]
	s_waitcnt vmcnt(0)
	global_store_dwordx4 v[18:19], v[4:7], off glc slc
	s_andn2_b64 exec, exec, s[78:79]
	s_cbranch_execnz .LBB4_350
; %bb.351:                              ;   in Loop: Header=BB4_268 Depth=4
	s_or_b64 exec, exec, s[78:79]
.LBB4_352:                              ;   in Loop: Header=BB4_268 Depth=4
	s_or_b64 exec, exec, s[76:77]
	v_and_b32_e32 v57, 15, v9
	v_cndmask_b32_e32 v25, v56, v57, vcc
	v_mov_b32_e32 v24, 0
	v_cmp_ne_u32_e64 s[22:23], 0, v25
	s_mov_b64 s[78:79], 0
                                        ; implicit-def: $vgpr33
                                        ; implicit-def: $vgpr43
	s_and_saveexec_b64 s[76:77], s[22:23]
	s_cbranch_execz .LBB4_354
; %bb.353:                              ;   in Loop: Header=BB4_268 Depth=4
	v_sub_u32_e32 v4, v56, v57
	v_cndmask_b32_e32 v4, 0, v4, vcc
	v_cmp_lt_i32_e32 vcc, 0, v47
	v_add3_u32 v24, v42, v40, v4
	v_cndmask_b32_e32 v4, 0, v14, vcc
	v_sub_u32_e32 v4, v4, v47
	v_lshl_add_u32 v33, v4, 6, v41
	v_ashrrev_i32_e32 v4, 31, v33
	v_lshrrev_b32_e32 v4, 26, v4
	v_add_u32_e32 v4, v33, v4
	v_ashrrev_i32_e32 v43, 6, v4
	s_mov_b64 s[78:79], exec
.LBB4_354:                              ;   in Loop: Header=BB4_268 Depth=4
	s_or_b64 exec, exec, s[76:77]
	s_and_b64 s[76:77], s[78:79], exec
.LBB4_355:                              ;   in Loop: Header=BB4_268 Depth=4
	s_or_b64 exec, exec, s[74:75]
	s_and_saveexec_b64 s[22:23], s[76:77]
	s_cbranch_execz .LBB4_364
.LBB4_356:                              ;   in Loop: Header=BB4_268 Depth=4
	v_ashrrev_i32_e32 v4, 31, v25
	v_lshrrev_b32_e32 v4, 22, v4
	v_add_u32_e32 v4, v25, v4
	v_ashrrev_i32_e32 v42, 10, v4
	v_sub_u32_e32 v40, v42, v43
	v_ashrrev_i32_e32 v4, 31, v33
	v_cmp_lt_i32_e32 vcc, 0, v40
	v_lshrrev_b32_e32 v41, 26, v4
	s_and_saveexec_b64 s[74:75], vcc
	s_cbranch_execz .LBB4_360
; %bb.357:                              ;   in Loop: Header=BB4_268 Depth=4
	v_add_u32_e32 v4, v33, v41
	v_and_b32_e32 v4, 0xffffffc0, v4
	v_sub_u32_e32 v4, v33, v4
	v_lshlrev_b32_e32 v5, 10, v43
	v_add3_u32 v43, v24, v4, v5
	v_ashrrev_i32_e32 v47, 31, v43
	s_mov_b64 s[76:77], 0
.LBB4_358:                              ;   Parent Loop BB4_53 Depth=1
                                        ;     Parent Loop BB4_89 Depth=2
                                        ;       Parent Loop BB4_265 Depth=3
                                        ;         Parent Loop BB4_268 Depth=4
                                        ; =>        This Inner Loop Header: Depth=5
	v_add_co_u32_e32 v4, vcc, v43, v52
	v_addc_co_u32_e32 v5, vcc, v47, v53, vcc
	flat_load_ubyte v6, v[4:5] glc slc
	flat_load_ubyte v7, v[4:5] offset:64 glc slc
	flat_load_ubyte v18, v[4:5] offset:128 glc slc
	;; [unrolled: 1-line block ×12, first 2 shown]
	s_waitcnt vmcnt(0)
	flat_load_ubyte v59, v[4:5] offset:832 glc slc
	flat_load_ubyte v60, v[4:5] offset:896 glc slc
	;; [unrolled: 1-line block ×3, first 2 shown]
	v_add_co_u32_e32 v4, vcc, v43, v54
	v_addc_co_u32_e32 v5, vcc, v47, v55, vcc
	v_add_co_u32_e32 v52, vcc, v52, v34
	v_addc_co_u32_e32 v53, vcc, 0, v53, vcc
	v_add_co_u32_e32 v54, vcc, v54, v34
	v_sub_u32_e32 v40, v40, v14
	v_addc_co_u32_e32 v55, vcc, 0, v55, vcc
	v_cmp_gt_i32_e32 vcc, 1, v40
	s_or_b64 s[76:77], vcc, s[76:77]
	s_waitcnt lgkmcnt(0)
	flat_store_byte v[4:5], v6 glc slc
	flat_store_byte v[4:5], v7 offset:64 glc slc
	flat_store_byte v[4:5], v18 offset:128 glc slc
	;; [unrolled: 1-line block ×12, first 2 shown]
	s_waitcnt vmcnt(0)
	flat_store_byte v[4:5], v59 offset:832 glc slc
	flat_store_byte v[4:5], v60 offset:896 glc slc
	;; [unrolled: 1-line block ×3, first 2 shown]
	s_andn2_b64 exec, exec, s[76:77]
	s_cbranch_execnz .LBB4_358
; %bb.359:                              ;   in Loop: Header=BB4_268 Depth=4
	s_or_b64 exec, exec, s[76:77]
	buffer_load_dword v59, off, s[0:3], s33 offset:60 ; 4-byte Folded Reload
	buffer_load_dword v60, off, s[0:3], s33 offset:64 ; 4-byte Folded Reload
	;; [unrolled: 1-line block ×4, first 2 shown]
	v_ashrrev_i32_e32 v29, 31, v12
.LBB4_360:                              ;   in Loop: Header=BB4_268 Depth=4
	s_or_b64 exec, exec, s[74:75]
	v_lshlrev_b32_e32 v52, 10, v42
	v_cmp_ne_u32_e32 vcc, v25, v52
	s_and_b64 exec, exec, vcc
	s_cbranch_execz .LBB4_364
; %bb.361:                              ;   in Loop: Header=BB4_268 Depth=4
	v_add_u32_e32 v4, v33, v41
	v_and_b32_e32 v4, 0xffffffc0, v4
	v_sub_u32_e32 v4, v33, v4
	v_lshlrev_b32_e32 v5, 6, v40
	v_sub_u32_e32 v4, v4, v5
	v_add_u32_e32 v33, v52, v4
	v_sub_u32_e32 v25, v25, v33
	v_cmp_lt_i32_e32 vcc, 0, v25
	s_and_b64 exec, exec, vcc
	s_cbranch_execz .LBB4_364
; %bb.362:                              ;   in Loop: Header=BB4_268 Depth=4
	s_trap 2
	ds_read_b64 v[52:53], v0
	v_add_u32_e32 v24, v33, v24
	v_ashrrev_i32_e32 v33, 31, v24
	s_mov_b64 s[74:75], 0
.LBB4_363:                              ;   Parent Loop BB4_53 Depth=1
                                        ;     Parent Loop BB4_89 Depth=2
                                        ;       Parent Loop BB4_265 Depth=3
                                        ;         Parent Loop BB4_268 Depth=4
                                        ; =>        This Inner Loop Header: Depth=5
	s_waitcnt lgkmcnt(0)
	v_add_co_u32_e32 v4, vcc, v52, v24
	v_addc_co_u32_e32 v5, vcc, v53, v33, vcc
	flat_load_ubyte v6, v[4:5] glc slc
	v_add_co_u32_e32 v24, vcc, v24, v3
	v_sub_u32_e32 v25, v25, v3
	v_addc_co_u32_e32 v33, vcc, 0, v33, vcc
	v_cmp_gt_i32_e32 vcc, 1, v25
	s_or_b64 s[74:75], vcc, s[74:75]
	s_waitcnt vmcnt(0) lgkmcnt(0)
	flat_store_byte v[4:5], v6 glc slc
	s_andn2_b64 exec, exec, s[74:75]
	s_cbranch_execnz .LBB4_363
.LBB4_364:                              ;   in Loop: Header=BB4_268 Depth=4
	s_or_b64 exec, exec, s[22:23]
	v_cmp_lt_i32_e64 s[22:23], 0, v9
	s_and_saveexec_b64 s[74:75], s[6:7]
	s_cbranch_execz .LBB4_383
.LBB4_365:                              ;   in Loop: Header=BB4_268 Depth=4
	s_and_saveexec_b64 s[76:77], s[28:29]
	s_xor_b64 s[76:77], exec, s[76:77]
	s_cbranch_execz .LBB4_380
; %bb.366:                              ;   in Loop: Header=BB4_268 Depth=4
	s_and_saveexec_b64 s[78:79], s[12:13]
	s_cbranch_execz .LBB4_379
; %bb.367:                              ;   in Loop: Header=BB4_268 Depth=4
	s_mov_b64 s[90:91], exec
	v_mbcnt_lo_u32_b32 v4, s90, 0
	v_mbcnt_hi_u32_b32 v4, s91, v4
	v_cmp_eq_u32_e32 vcc, 0, v4
	s_waitcnt vmcnt(0) lgkmcnt(0)
	buffer_wbinvl1_vol
	s_and_saveexec_b64 s[88:89], vcc
	s_cbranch_execz .LBB4_369
; %bb.368:                              ;   in Loop: Header=BB4_268 Depth=4
	s_bcnt1_i32_b64 s90, s[90:91]
	v_mov_b32_e32 v4, s90
	v_mov_b32_e32 v5, v32
	ds_add_u64 v0, v[4:5]
	s_trap 2
.LBB4_369:                              ;   in Loop: Header=BB4_268 Depth=4
	s_or_b64 exec, exec, s[88:89]
	s_trap 2
	ds_read_b64 v[4:5], v0
	s_waitcnt lgkmcnt(0)
	v_add_co_u32_e32 v10, vcc, v10, v14
	v_addc_co_u32_e32 v11, vcc, 0, v11, vcc
	v_cmp_lt_u64_e32 vcc, v[4:5], v[10:11]
	s_and_saveexec_b64 s[88:89], vcc
	s_cbranch_execz .LBB4_378
; %bb.370:                              ;   in Loop: Header=BB4_268 Depth=4
	s_mov_b32 s36, 0
	s_mov_b64 s[90:91], 0
                                        ; implicit-def: $sgpr92_sgpr93
                                        ; implicit-def: $sgpr94_sgpr95
	s_branch .LBB4_372
.LBB4_371:                              ;   in Loop: Header=BB4_372 Depth=5
	s_or_b64 exec, exec, s[34:35]
	s_and_b64 vcc, exec, vcc
	s_or_b64 s[90:91], vcc, s[90:91]
	s_andn2_b64 s[92:93], s[92:93], exec
	s_and_b64 vcc, s[94:95], exec
	s_or_b64 s[92:93], s[92:93], vcc
	s_andn2_b64 exec, exec, s[90:91]
	s_cbranch_execz .LBB4_376
.LBB4_372:                              ;   Parent Loop BB4_53 Depth=1
                                        ;     Parent Loop BB4_89 Depth=2
                                        ;       Parent Loop BB4_265 Depth=3
                                        ;         Parent Loop BB4_268 Depth=4
                                        ; =>        This Inner Loop Header: Depth=5
	s_add_i32 s36, s36, 1
	s_cmpk_lg_i32 s36, 0x2710
	s_cselect_b64 s[30:31], -1, 0
	s_and_b64 vcc, exec, s[30:31]
	s_cbranch_vccz .LBB4_374
; %bb.373:                              ;   in Loop: Header=BB4_372 Depth=5
	s_mov_b64 vcc, -1
	s_or_b64 s[94:95], s[94:95], exec
	s_and_saveexec_b64 s[34:35], s[30:31]
	s_cbranch_execz .LBB4_371
	s_branch .LBB4_375
.LBB4_374:                              ;   in Loop: Header=BB4_372 Depth=5
	s_trap 2
	ds_read_b64 v[4:5], v0
	s_andn2_b64 s[30:31], s[30:31], exec
	s_mov_b32 s36, 0
	s_waitcnt lgkmcnt(0)
	flat_load_dword v4, v[4:5] glc
	s_waitcnt vmcnt(0) lgkmcnt(0)
	buffer_wbinvl1_vol
	v_cmp_eq_u32_e32 vcc, 0, v4
	s_and_b64 vcc, vcc, exec
	s_or_b64 s[30:31], s[30:31], vcc
	s_mov_b64 vcc, -1
	s_or_b64 s[94:95], s[94:95], exec
	s_and_saveexec_b64 s[34:35], s[30:31]
	s_cbranch_execz .LBB4_371
.LBB4_375:                              ;   in Loop: Header=BB4_372 Depth=5
	s_sleep 1
	s_trap 2
	ds_read_b64 v[4:5], v0
	s_waitcnt lgkmcnt(0)
	s_andn2_b64 s[94:95], s[94:95], exec
	v_cmp_ge_u64_e32 vcc, v[4:5], v[10:11]
	s_orn2_b64 vcc, vcc, exec
	s_branch .LBB4_371
.LBB4_376:                              ;   in Loop: Header=BB4_268 Depth=4
	s_or_b64 exec, exec, s[90:91]
	s_and_saveexec_b64 s[90:91], s[92:93]
	s_xor_b64 s[90:91], exec, s[90:91]
	s_cbranch_execz .LBB4_378
; %bb.377:                              ;   in Loop: Header=BB4_268 Depth=4
	ds_write_b32 v0, v31
	s_trap 2
.LBB4_378:                              ;   in Loop: Header=BB4_268 Depth=4
	s_or_b64 exec, exec, s[88:89]
	;;#ASMSTART
	s_wakeup
	;;#ASMEND
.LBB4_379:                              ;   in Loop: Header=BB4_268 Depth=4
	s_or_b64 exec, exec, s[78:79]
.LBB4_380:                              ;   in Loop: Header=BB4_268 Depth=4
	s_andn2_saveexec_b64 s[76:77], s[76:77]
	s_cbranch_execz .LBB4_382
; %bb.381:                              ;   in Loop: Header=BB4_268 Depth=4
	s_waitcnt vmcnt(0) lgkmcnt(0)
	buffer_wbinvl1_vol
	s_barrier
.LBB4_382:                              ;   in Loop: Header=BB4_268 Depth=4
	s_or_b64 exec, exec, s[76:77]
.LBB4_383:                              ;   in Loop: Header=BB4_268 Depth=4
	s_or_b64 exec, exec, s[74:75]
	v_and_b32_e32 v9, 16, v13
	v_cmp_ne_u32_e32 vcc, 0, v9
	s_and_b64 s[74:75], vcc, s[22:23]
	s_and_saveexec_b64 s[22:23], s[74:75]
	s_cbranch_execz .LBB4_385
; %bb.384:                              ;   in Loop: Header=BB4_268 Depth=4
	s_waitcnt vmcnt(0) lgkmcnt(0)
	buffer_wbinvl1_vol
.LBB4_385:                              ;   in Loop: Header=BB4_268 Depth=4
	s_or_b64 exec, exec, s[22:23]
	v_cmp_ne_u32_e32 vcc, 0, v9
	s_xor_b64 s[22:23], s[18:19], -1
	s_and_b64 s[74:75], vcc, s[22:23]
	s_and_saveexec_b64 s[22:23], s[74:75]
	s_cbranch_execz .LBB4_387
; %bb.386:                              ;   in Loop: Header=BB4_268 Depth=4
	flat_store_dword v[1:2], v31
.LBB4_387:                              ;   in Loop: Header=BB4_268 Depth=4
	s_or_b64 exec, exec, s[22:23]
	v_and_b32_e32 v4, 48, v13
	v_cmp_ne_u32_e32 vcc, 0, v4
	s_and_saveexec_b64 s[22:23], vcc
	s_cbranch_execz .LBB4_267
; %bb.388:                              ;   in Loop: Header=BB4_268 Depth=4
	v_add_co_u32_e32 v48, vcc, 2, v48
	v_addc_co_u32_e32 v49, vcc, 0, v49, vcc
	flat_store_dwordx2 v[16:17], v[48:49]
	s_branch .LBB4_267
.LBB4_389:                              ;   in Loop: Header=BB4_265 Depth=3
	s_or_b64 exec, exec, s[62:63]
.LBB4_390:                              ;   in Loop: Header=BB4_265 Depth=3
	s_or_b64 exec, exec, s[60:61]
	v_cmp_gt_i32_e32 vcc, 2, v9
	s_and_saveexec_b64 s[60:61], vcc
	s_cbranch_execz .LBB4_264
; %bb.391:                              ;   in Loop: Header=BB4_265 Depth=3
	v_cmp_eq_u32_e64 s[72:73], 0, v9
	s_mov_b64 s[62:63], 0
	s_branch .LBB4_393
.LBB4_392:                              ;   in Loop: Header=BB4_393 Depth=4
	s_or_b64 exec, exec, s[22:23]
	v_add_u32_e32 v46, v8, v46
	s_mov_b64 s[72:73], 0
	s_andn2_b64 exec, exec, s[62:63]
	s_cbranch_execz .LBB4_263
.LBB4_393:                              ;   Parent Loop BB4_53 Depth=1
                                        ;     Parent Loop BB4_89 Depth=2
                                        ;       Parent Loop BB4_265 Depth=3
                                        ; =>      This Loop Header: Depth=4
                                        ;           Child Loop BB4_399 Depth 5
                                        ;           Child Loop BB4_427 Depth 5
	v_sub_u32_e32 v4, v44, v46
	v_min_i32_e32 v8, v8, v4
	v_and_b32_e32 v4, 12, v13
	v_cmp_ne_u32_e32 vcc, 0, v4
	s_and_saveexec_b64 s[74:75], vcc
	s_cbranch_execz .LBB4_419
; %bb.394:                              ;   in Loop: Header=BB4_393 Depth=4
	v_and_b32_e32 v24, 8, v13
	s_waitcnt vmcnt(0)
	v_add_co_u32_e32 v4, vcc, v22, v24
	v_addc_co_u32_e32 v5, vcc, 0, v23, vcc
	v_add_co_u32_e32 v52, vcc, 2, v48
	v_addc_co_u32_e32 v53, vcc, 0, v49, vcc
	v_cmp_lt_u64_e32 vcc, v[4:5], v[52:53]
	s_and_saveexec_b64 s[76:77], vcc
	s_cbranch_execz .LBB4_406
; %bb.395:                              ;   in Loop: Header=BB4_393 Depth=4
	v_and_b32_e32 v4, 64, v13
	s_mov_b32 s64, 0
	v_cmp_eq_u32_e32 vcc, 0, v4
	s_mov_b64 s[78:79], 0
                                        ; implicit-def: $sgpr88_sgpr89
                                        ; implicit-def: $sgpr90_sgpr91
                                        ; implicit-def: $sgpr92_sgpr93
	s_branch .LBB4_399
.LBB4_396:                              ;   in Loop: Header=BB4_399 Depth=5
	s_waitcnt vmcnt(0) lgkmcnt(0)
	v_add_co_u32_e64 v4, s[22:23], v22, v24
	v_addc_co_u32_e64 v5, s[22:23], 0, v23, s[22:23]
	v_cmp_ge_u64_e64 s[22:23], v[4:5], v[52:53]
	s_or_b64 s[34:35], s[34:35], exec
	s_orn2_b64 s[30:31], s[22:23], exec
.LBB4_397:                              ;   in Loop: Header=BB4_399 Depth=5
	s_or_b64 exec, exec, s[38:39]
	s_andn2_b64 s[22:23], s[92:93], exec
	s_and_b64 s[92:93], s[34:35], exec
	s_or_b64 s[92:93], s[22:23], s[92:93]
	s_andn2_b64 s[22:23], s[90:91], exec
	s_and_b64 s[90:91], s[30:31], exec
	s_or_b64 s[90:91], s[22:23], s[90:91]
.LBB4_398:                              ;   in Loop: Header=BB4_399 Depth=5
	s_or_b64 exec, exec, s[94:95]
	s_and_b64 s[22:23], exec, s[90:91]
	s_or_b64 s[78:79], s[22:23], s[78:79]
	s_andn2_b64 s[22:23], s[88:89], exec
	s_and_b64 s[88:89], s[92:93], exec
	s_or_b64 s[88:89], s[22:23], s[88:89]
	s_andn2_b64 exec, exec, s[78:79]
	s_cbranch_execz .LBB4_403
.LBB4_399:                              ;   Parent Loop BB4_53 Depth=1
                                        ;     Parent Loop BB4_89 Depth=2
                                        ;       Parent Loop BB4_265 Depth=3
                                        ;         Parent Loop BB4_393 Depth=4
                                        ; =>        This Inner Loop Header: Depth=5
	s_sleep 1
	s_waitcnt vmcnt(0) lgkmcnt(0)
	flat_load_dwordx2 v[22:23], v[16:17] glc
	s_or_b64 s[92:93], s[92:93], exec
	s_or_b64 s[90:91], s[90:91], exec
                                        ; implicit-def: $vgpr9
	s_and_saveexec_b64 s[94:95], vcc
	s_cbranch_execz .LBB4_398
; %bb.400:                              ;   in Loop: Header=BB4_399 Depth=5
	s_cmpk_lt_i32 s64, 0x270f
	s_cselect_b64 s[36:37], -1, 0
	s_cmpk_gt_i32 s64, 0x270e
	s_mov_b64 s[30:31], -1
	s_cbranch_scc0 .LBB4_402
; %bb.401:                              ;   in Loop: Header=BB4_399 Depth=5
	s_trap 2
	ds_read_b64 v[4:5], v0
	s_andn2_b64 s[36:37], s[36:37], exec
	s_mov_b32 s64, 0
	s_mov_b64 s[34:35], 0
	s_waitcnt vmcnt(0) lgkmcnt(0)
	flat_load_dword v9, v[4:5] glc
	s_waitcnt vmcnt(0) lgkmcnt(0)
	buffer_wbinvl1_vol
	v_cmp_eq_u32_e64 s[22:23], 0, v9
	s_and_b64 s[22:23], s[22:23], exec
	s_or_b64 s[36:37], s[36:37], s[22:23]
	s_and_saveexec_b64 s[38:39], s[36:37]
	s_cbranch_execz .LBB4_397
	s_branch .LBB4_396
.LBB4_402:                              ;   in Loop: Header=BB4_399 Depth=5
	s_add_i32 s64, s64, 1
	s_mov_b64 s[34:35], -1
                                        ; implicit-def: $vgpr9
	s_and_saveexec_b64 s[38:39], s[36:37]
	s_cbranch_execz .LBB4_397
	s_branch .LBB4_396
.LBB4_403:                              ;   in Loop: Header=BB4_393 Depth=4
	s_or_b64 exec, exec, s[78:79]
	s_xor_b64 s[22:23], s[88:89], -1
	s_and_saveexec_b64 s[78:79], s[22:23]
	s_xor_b64 s[22:23], exec, s[78:79]
	s_cbranch_execz .LBB4_405
; %bb.404:                              ;   in Loop: Header=BB4_393 Depth=4
	v_or_b32_e32 v13, 64, v13
	s_waitcnt lgkmcnt(0)
	ds_write_b32 v0, v9
	s_trap 2
.LBB4_405:                              ;   in Loop: Header=BB4_393 Depth=4
	s_or_b64 exec, exec, s[22:23]
.LBB4_406:                              ;   in Loop: Header=BB4_393 Depth=4
	s_or_b64 exec, exec, s[76:77]
	v_and_b32_e32 v4, 0x108, v13
	v_cmp_ne_u32_e32 vcc, s54, v4
	v_and_b32_e32 v25, 7, v48
	;;#ASMSTART
	s_wakeup
	;;#ASMEND
	s_and_saveexec_b64 s[22:23], vcc
	s_xor_b64 s[22:23], exec, s[22:23]
                                        ; implicit-def: $vgpr33
; %bb.407:                              ;   in Loop: Header=BB4_393 Depth=4
	v_mov_b32_e32 v33, v32
; %bb.408:                              ;   in Loop: Header=BB4_393 Depth=4
	s_andn2_saveexec_b64 s[22:23], s[22:23]
	s_cbranch_execz .LBB4_410
; %bb.409:                              ;   in Loop: Header=BB4_393 Depth=4
	v_mad_u64_u32 v[4:5], s[76:77], v25, 24, v[59:60]
	v_mov_b32_e32 v33, v32
	v_ashrrev_i32_e32 v9, 31, v8
	flat_store_dwordx2 v[4:5], v[8:9] offset:8
.LBB4_410:                              ;   in Loop: Header=BB4_393 Depth=4
	s_or_b64 exec, exec, s[22:23]
	v_and_b32_e32 v4, 0x100, v13
	v_cmp_ne_u32_e32 vcc, 0, v4
	s_mov_b64 s[22:23], -1
                                        ; implicit-def: $vgpr48_vgpr49
	s_and_saveexec_b64 s[76:77], vcc
	s_cbranch_execz .LBB4_414
; %bb.411:                              ;   in Loop: Header=BB4_393 Depth=4
	v_mad_u64_u32 v[54:55], s[22:23], v25, 24, v[59:60]
                                        ; implicit-def: $vgpr48_vgpr49
	v_mov_b32_e32 v4, v55
	v_mad_u64_u32 v[4:5], s[22:23], v33, 24, v[4:5]
	v_mov_b32_e32 v55, v4
	flat_load_dword v4, v[54:55]
	s_waitcnt vmcnt(0) lgkmcnt(0)
	v_cmp_ne_u32_e32 vcc, 1, v4
	v_cmp_eq_u32_e64 s[22:23], 1, v4
	s_and_saveexec_b64 s[78:79], s[22:23]
	s_cbranch_execz .LBB4_413
; %bb.412:                              ;   in Loop: Header=BB4_393 Depth=4
	flat_load_dword v48, v[54:55] offset:4 glc
	s_waitcnt vmcnt(0) lgkmcnt(0)
	v_ashrrev_i32_e32 v49, 31, v48
.LBB4_413:                              ;   in Loop: Header=BB4_393 Depth=4
	s_or_b64 exec, exec, s[78:79]
	s_orn2_b64 s[22:23], vcc, exec
.LBB4_414:                              ;   in Loop: Header=BB4_393 Depth=4
	s_or_b64 exec, exec, s[76:77]
	s_and_saveexec_b64 s[76:77], s[22:23]
	s_cbranch_execz .LBB4_416
; %bb.415:                              ;   in Loop: Header=BB4_393 Depth=4
	v_mul_lo_u32 v4, v33, v12
	v_mul_lo_u32 v5, v25, v29
	v_mad_u64_u32 v[48:49], s[22:23], v25, v12, 0
	v_add3_u32 v49, v49, v5, v4
.LBB4_416:                              ;   in Loop: Header=BB4_393 Depth=4
	s_or_b64 exec, exec, s[76:77]
	v_cmp_eq_u32_e32 vcc, 0, v24
	v_cndmask_b32_e32 v6, v30, v35, vcc
	v_add_co_u32_e32 v4, vcc, v50, v48
	v_addc_co_u32_e32 v5, vcc, v51, v49, vcc
	v_add_u32_e32 v6, v0, v6
	ds_write_b64 v6, v[4:5] offset:584
	v_and_b32_e32 v4, 0x2000, v13
	v_cmp_ne_u32_e32 vcc, 0, v4
	s_and_saveexec_b64 s[22:23], vcc
	s_cbranch_execz .LBB4_418
; %bb.417:                              ;   in Loop: Header=BB4_393 Depth=4
	ds_read_b64 v[4:5], v0 offset:872
	s_waitcnt lgkmcnt(0)
	v_add_co_u32_e32 v4, vcc, 1, v4
	v_addc_co_u32_e32 v5, vcc, 0, v5, vcc
	ds_write_b64 v0, v[4:5] offset:872
.LBB4_418:                              ;   in Loop: Header=BB4_393 Depth=4
	s_or_b64 exec, exec, s[22:23]
	v_mov_b32_e32 v48, v52
	v_mov_b32_e32 v49, v53
.LBB4_419:                              ;   in Loop: Header=BB4_393 Depth=4
	s_or_b64 exec, exec, s[74:75]
	s_xor_b64 s[22:23], s[72:73], -1
	s_and_b64 s[22:23], exec, s[22:23]
	s_or_b64 s[62:63], s[22:23], s[62:63]
	s_and_saveexec_b64 s[22:23], s[6:7]
	s_cbranch_execz .LBB4_438
; %bb.420:                              ;   in Loop: Header=BB4_393 Depth=4
	s_and_saveexec_b64 s[72:73], s[28:29]
	s_xor_b64 s[72:73], exec, s[72:73]
	s_cbranch_execz .LBB4_435
; %bb.421:                              ;   in Loop: Header=BB4_393 Depth=4
	s_and_saveexec_b64 s[74:75], s[12:13]
	s_cbranch_execz .LBB4_434
; %bb.422:                              ;   in Loop: Header=BB4_393 Depth=4
	s_mov_b64 s[78:79], exec
	v_mbcnt_lo_u32_b32 v4, s78, 0
	v_mbcnt_hi_u32_b32 v4, s79, v4
	v_cmp_eq_u32_e32 vcc, 0, v4
	s_waitcnt vmcnt(0) lgkmcnt(0)
	buffer_wbinvl1_vol
	s_and_saveexec_b64 s[76:77], vcc
	s_cbranch_execz .LBB4_424
; %bb.423:                              ;   in Loop: Header=BB4_393 Depth=4
	s_bcnt1_i32_b64 s78, s[78:79]
	v_mov_b32_e32 v4, s78
	v_mov_b32_e32 v5, v32
	ds_add_u64 v0, v[4:5]
	s_trap 2
.LBB4_424:                              ;   in Loop: Header=BB4_393 Depth=4
	s_or_b64 exec, exec, s[76:77]
	s_trap 2
	ds_read_b64 v[4:5], v0
	s_waitcnt lgkmcnt(0)
	v_add_co_u32_e32 v10, vcc, v10, v14
	v_addc_co_u32_e32 v11, vcc, 0, v11, vcc
	v_cmp_lt_u64_e32 vcc, v[4:5], v[10:11]
	s_and_saveexec_b64 s[76:77], vcc
	s_cbranch_execz .LBB4_433
; %bb.425:                              ;   in Loop: Header=BB4_393 Depth=4
	s_mov_b32 s30, 0
	s_mov_b64 s[78:79], 0
                                        ; implicit-def: $sgpr88_sgpr89
                                        ; implicit-def: $sgpr90_sgpr91
	s_branch .LBB4_427
.LBB4_426:                              ;   in Loop: Header=BB4_427 Depth=5
	s_or_b64 exec, exec, s[94:95]
	s_and_b64 s[92:93], exec, vcc
	s_or_b64 s[78:79], s[92:93], s[78:79]
	s_andn2_b64 s[88:89], s[88:89], exec
	s_and_b64 s[92:93], s[90:91], exec
	s_or_b64 s[88:89], s[88:89], s[92:93]
	s_andn2_b64 exec, exec, s[78:79]
	s_cbranch_execz .LBB4_431
.LBB4_427:                              ;   Parent Loop BB4_53 Depth=1
                                        ;     Parent Loop BB4_89 Depth=2
                                        ;       Parent Loop BB4_265 Depth=3
                                        ;         Parent Loop BB4_393 Depth=4
                                        ; =>        This Inner Loop Header: Depth=5
	s_add_i32 s30, s30, 1
	s_cmpk_lg_i32 s30, 0x2710
	s_cselect_b64 s[92:93], -1, 0
	s_and_b64 vcc, exec, s[92:93]
	s_cbranch_vccz .LBB4_429
; %bb.428:                              ;   in Loop: Header=BB4_427 Depth=5
	s_mov_b64 vcc, -1
	s_or_b64 s[90:91], s[90:91], exec
	s_and_saveexec_b64 s[94:95], s[92:93]
	s_cbranch_execz .LBB4_426
	s_branch .LBB4_430
.LBB4_429:                              ;   in Loop: Header=BB4_427 Depth=5
	s_trap 2
	ds_read_b64 v[4:5], v0
	s_andn2_b64 s[92:93], s[92:93], exec
	s_mov_b32 s30, 0
	s_waitcnt lgkmcnt(0)
	flat_load_dword v4, v[4:5] glc
	s_waitcnt vmcnt(0) lgkmcnt(0)
	buffer_wbinvl1_vol
	v_cmp_eq_u32_e32 vcc, 0, v4
	s_and_b64 s[94:95], vcc, exec
	s_or_b64 s[92:93], s[92:93], s[94:95]
	s_mov_b64 vcc, -1
	s_or_b64 s[90:91], s[90:91], exec
	s_and_saveexec_b64 s[94:95], s[92:93]
	s_cbranch_execz .LBB4_426
.LBB4_430:                              ;   in Loop: Header=BB4_427 Depth=5
	s_sleep 1
	s_trap 2
	ds_read_b64 v[4:5], v0
	s_waitcnt lgkmcnt(0)
	s_andn2_b64 s[90:91], s[90:91], exec
	v_cmp_ge_u64_e32 vcc, v[4:5], v[10:11]
	s_orn2_b64 vcc, vcc, exec
	s_branch .LBB4_426
.LBB4_431:                              ;   in Loop: Header=BB4_393 Depth=4
	s_or_b64 exec, exec, s[78:79]
	s_and_saveexec_b64 s[78:79], s[88:89]
	s_xor_b64 s[78:79], exec, s[78:79]
	s_cbranch_execz .LBB4_433
; %bb.432:                              ;   in Loop: Header=BB4_393 Depth=4
	ds_write_b32 v0, v31
	s_trap 2
.LBB4_433:                              ;   in Loop: Header=BB4_393 Depth=4
	s_or_b64 exec, exec, s[76:77]
	;;#ASMSTART
	s_wakeup
	;;#ASMEND
.LBB4_434:                              ;   in Loop: Header=BB4_393 Depth=4
	s_or_b64 exec, exec, s[74:75]
.LBB4_435:                              ;   in Loop: Header=BB4_393 Depth=4
	s_andn2_saveexec_b64 s[72:73], s[72:73]
	s_cbranch_execz .LBB4_437
; %bb.436:                              ;   in Loop: Header=BB4_393 Depth=4
	s_waitcnt vmcnt(0) lgkmcnt(0)
	buffer_wbinvl1_vol
	s_barrier
.LBB4_437:                              ;   in Loop: Header=BB4_393 Depth=4
	s_or_b64 exec, exec, s[72:73]
.LBB4_438:                              ;   in Loop: Header=BB4_393 Depth=4
	s_or_b64 exec, exec, s[22:23]
	s_trap 2
	ds_read_b32 v4, v0
	v_cmp_lt_i32_e32 vcc, 0, v8
	v_and_b32_e32 v9, 16, v13
	s_waitcnt lgkmcnt(0)
	v_readfirstlane_b32 s22, v4
	s_cmp_eq_u32 s22, 0
	s_cselect_b64 s[22:23], -1, 0
	s_and_b64 s[22:23], vcc, s[22:23]
	v_cmp_ne_u32_e32 vcc, 0, v9
	s_and_b64 s[72:73], vcc, s[22:23]
	s_and_saveexec_b64 s[22:23], s[72:73]
	s_cbranch_execz .LBB4_440
; %bb.439:                              ;   in Loop: Header=BB4_393 Depth=4
	s_waitcnt vmcnt(0)
	buffer_wbinvl1_vol
.LBB4_440:                              ;   in Loop: Header=BB4_393 Depth=4
	s_or_b64 exec, exec, s[22:23]
	v_cmp_ne_u32_e32 vcc, 0, v9
	s_xor_b64 s[22:23], s[18:19], -1
	s_and_b64 s[72:73], vcc, s[22:23]
	s_and_saveexec_b64 s[22:23], s[72:73]
	s_cbranch_execz .LBB4_442
; %bb.441:                              ;   in Loop: Header=BB4_393 Depth=4
	flat_store_dword v[1:2], v31
.LBB4_442:                              ;   in Loop: Header=BB4_393 Depth=4
	s_or_b64 exec, exec, s[22:23]
	v_and_b32_e32 v4, 48, v13
	v_cmp_ne_u32_e32 vcc, 0, v4
	s_and_saveexec_b64 s[22:23], vcc
	s_cbranch_execz .LBB4_392
; %bb.443:                              ;   in Loop: Header=BB4_393 Depth=4
	v_add_co_u32_e32 v48, vcc, 2, v48
	v_addc_co_u32_e32 v49, vcc, 0, v49, vcc
	flat_store_dwordx2 v[16:17], v[48:49]
	s_branch .LBB4_392
.LBB4_444:                              ;   in Loop: Header=BB4_89 Depth=2
	buffer_load_dword v5, off, s[0:3], s33 offset:80 ; 4-byte Folded Reload
	buffer_load_dword v6, off, s[0:3], s33 offset:84 ; 4-byte Folded Reload
	buffer_load_dword v4, off, s[0:3], s33 offset:112 ; 4-byte Folded Reload
	v_mov_b32_e32 v8, 0
	v_mov_b32_e32 v43, 0
	s_waitcnt vmcnt(0)
	v_add_co_u32_e32 v44, vcc, v5, v4
	buffer_load_dword v4, off, s[0:3], s33 offset:116 ; 4-byte Folded Reload
	v_max_i32_e32 v33, 0, v44
	s_waitcnt vmcnt(0)
	v_addc_co_u32_e32 v45, vcc, v6, v4, vcc
	v_add_u32_e32 v4, 31, v33
	v_lshrrev_b32_e32 v4, 1, v4
	v_and_b32_e32 v4, 0x3ffffff0, v4
	v_cmp_lt_i32_e32 vcc, 0, v44
	v_max_i32_e32 v42, s51, v4
	s_and_b64 s[22:23], s[40:41], vcc
	s_and_saveexec_b64 s[58:59], s[22:23]
	s_cbranch_execz .LBB4_563
; %bb.445:                              ;   in Loop: Header=BB4_89 Depth=2
	s_mov_b32 s38, 1
	s_mov_b64 s[62:63], -1
	v_mov_b32_e32 v43, 0
	s_mov_b64 s[60:61], 0
	s_branch .LBB4_447
.LBB4_446:                              ;   in Loop: Header=BB4_447 Depth=3
	s_or_b64 exec, exec, s[22:23]
	v_add_u32_e32 v43, v42, v43
	v_cmp_ge_i32_e32 vcc, v43, v33
	s_xor_b64 s[22:23], s[62:63], -1
	s_or_b64 s[22:23], s[22:23], vcc
	s_and_b64 s[22:23], exec, s[22:23]
	s_or_b64 s[60:61], s[22:23], s[60:61]
	s_mov_b64 s[62:63], 0
	v_mov_b32_e32 v8, s38
	s_mov_b32 s38, 2
	s_andn2_b64 exec, exec, s[60:61]
	s_cbranch_execz .LBB4_562
.LBB4_447:                              ;   Parent Loop BB4_53 Depth=1
                                        ;     Parent Loop BB4_89 Depth=2
                                        ; =>    This Loop Header: Depth=3
                                        ;         Child Loop BB4_455 Depth 4
                                        ;         Child Loop BB4_479 Depth 4
	;; [unrolled: 1-line block ×8, first 2 shown]
	s_and_saveexec_b64 s[22:23], s[4:5]
	s_cbranch_execz .LBB4_449
; %bb.448:                              ;   in Loop: Header=BB4_447 Depth=3
	s_trap 2
	ds_read_b128 v[4:7], v0
	v_ashrrev_i32_e32 v8, 31, v43
	s_waitcnt lgkmcnt(0)
	v_add_co_u32_e32 v4, vcc, v4, v44
	v_addc_co_u32_e32 v5, vcc, v5, v45, vcc
	v_add_co_u32_e32 v4, vcc, v4, v43
	v_addc_co_u32_e32 v5, vcc, v5, v8, vcc
	ds_write_b64 v0, v[4:5]
	v_add_co_u32_e32 v4, vcc, v6, v44
	v_addc_co_u32_e32 v5, vcc, v7, v45, vcc
	v_add_co_u32_e32 v4, vcc, v4, v43
	v_addc_co_u32_e32 v5, vcc, v5, v8, vcc
	v_cmp_ne_u64_e32 vcc, 0, v[6:7]
	v_cndmask_b32_e32 v5, 0, v5, vcc
	v_cndmask_b32_e32 v4, 0, v4, vcc
	ds_write_b64 v0, v[4:5]
.LBB4_449:                              ;   in Loop: Header=BB4_447 Depth=3
	s_or_b64 exec, exec, s[22:23]
	v_and_b32_e32 v4, 4, v13
	v_cmp_ne_u32_e32 vcc, 0, v4
	s_and_saveexec_b64 s[72:73], vcc
	s_cbranch_execz .LBB4_471
; %bb.450:                              ;   in Loop: Header=BB4_447 Depth=3
	v_add_co_u32_e32 v8, vcc, 2, v48
	v_addc_co_u32_e32 v9, vcc, 0, v49, vcc
	s_waitcnt vmcnt(0)
	v_cmp_lt_u64_e32 vcc, v[22:23], v[8:9]
	s_and_saveexec_b64 s[74:75], vcc
	s_cbranch_execz .LBB4_462
; %bb.451:                              ;   in Loop: Header=BB4_447 Depth=3
	v_and_b32_e32 v4, 64, v13
	s_mov_b32 s39, 0
	v_cmp_eq_u32_e32 vcc, 0, v4
	s_mov_b64 s[76:77], 0
                                        ; implicit-def: $sgpr78_sgpr79
                                        ; implicit-def: $sgpr88_sgpr89
                                        ; implicit-def: $sgpr90_sgpr91
	s_branch .LBB4_455
.LBB4_452:                              ;   in Loop: Header=BB4_455 Depth=4
	s_waitcnt vmcnt(0) lgkmcnt(0)
	v_cmp_ge_u64_e64 s[22:23], v[22:23], v[8:9]
	s_or_b64 s[30:31], s[30:31], exec
	s_orn2_b64 s[94:95], s[22:23], exec
.LBB4_453:                              ;   in Loop: Header=BB4_455 Depth=4
	s_or_b64 exec, exec, s[36:37]
	s_andn2_b64 s[22:23], s[90:91], exec
	s_and_b64 s[90:91], s[30:31], exec
	s_or_b64 s[90:91], s[22:23], s[90:91]
	s_andn2_b64 s[22:23], s[88:89], exec
	s_and_b64 s[88:89], s[94:95], exec
	s_or_b64 s[88:89], s[22:23], s[88:89]
.LBB4_454:                              ;   in Loop: Header=BB4_455 Depth=4
	s_or_b64 exec, exec, s[92:93]
	s_and_b64 s[22:23], exec, s[88:89]
	s_or_b64 s[76:77], s[22:23], s[76:77]
	s_andn2_b64 s[22:23], s[78:79], exec
	s_and_b64 s[78:79], s[90:91], exec
	s_or_b64 s[78:79], s[22:23], s[78:79]
	s_andn2_b64 exec, exec, s[76:77]
	s_cbranch_execz .LBB4_459
.LBB4_455:                              ;   Parent Loop BB4_53 Depth=1
                                        ;     Parent Loop BB4_89 Depth=2
                                        ;       Parent Loop BB4_447 Depth=3
                                        ; =>      This Inner Loop Header: Depth=4
	s_sleep 1
	s_waitcnt vmcnt(0) lgkmcnt(0)
	flat_load_dwordx2 v[22:23], v[16:17] glc
	s_or_b64 s[90:91], s[90:91], exec
	s_or_b64 s[88:89], s[88:89], exec
                                        ; implicit-def: $vgpr24
	s_and_saveexec_b64 s[92:93], vcc
	s_cbranch_execz .LBB4_454
; %bb.456:                              ;   in Loop: Header=BB4_455 Depth=4
	s_cmpk_lt_i32 s39, 0x270f
	s_cselect_b64 s[34:35], -1, 0
	s_cmpk_gt_i32 s39, 0x270e
	s_mov_b64 s[94:95], -1
	s_cbranch_scc0 .LBB4_458
; %bb.457:                              ;   in Loop: Header=BB4_455 Depth=4
	s_trap 2
	ds_read_b64 v[4:5], v0
	s_andn2_b64 s[34:35], s[34:35], exec
	s_mov_b32 s39, 0
	s_mov_b64 s[30:31], 0
	s_waitcnt vmcnt(0) lgkmcnt(0)
	flat_load_dword v24, v[4:5] glc
	s_waitcnt vmcnt(0) lgkmcnt(0)
	buffer_wbinvl1_vol
	v_cmp_eq_u32_e64 s[22:23], 0, v24
	s_and_b64 s[22:23], s[22:23], exec
	s_or_b64 s[34:35], s[34:35], s[22:23]
	s_and_saveexec_b64 s[36:37], s[34:35]
	s_cbranch_execz .LBB4_453
	s_branch .LBB4_452
.LBB4_458:                              ;   in Loop: Header=BB4_455 Depth=4
	s_add_i32 s39, s39, 1
	s_mov_b64 s[30:31], -1
                                        ; implicit-def: $vgpr24
	s_and_saveexec_b64 s[36:37], s[34:35]
	s_cbranch_execz .LBB4_453
	s_branch .LBB4_452
.LBB4_459:                              ;   in Loop: Header=BB4_447 Depth=3
	s_or_b64 exec, exec, s[76:77]
	s_xor_b64 s[22:23], s[78:79], -1
	s_and_saveexec_b64 s[76:77], s[22:23]
	s_xor_b64 s[22:23], exec, s[76:77]
	s_cbranch_execz .LBB4_461
; %bb.460:                              ;   in Loop: Header=BB4_447 Depth=3
	v_or_b32_e32 v13, 64, v13
	s_waitcnt lgkmcnt(0)
	ds_write_b32 v0, v24
	s_trap 2
.LBB4_461:                              ;   in Loop: Header=BB4_447 Depth=3
	s_or_b64 exec, exec, s[22:23]
.LBB4_462:                              ;   in Loop: Header=BB4_447 Depth=3
	s_or_b64 exec, exec, s[74:75]
	v_and_b32_e32 v4, 0x100, v13
	v_cmp_ne_u32_e32 vcc, 0, v4
	v_and_b32_e32 v24, 7, v48
	s_mov_b64 s[22:23], -1
	;;#ASMSTART
	s_wakeup
	;;#ASMEND
                                        ; implicit-def: $vgpr48_vgpr49
	s_and_saveexec_b64 s[74:75], vcc
	s_cbranch_execz .LBB4_466
; %bb.463:                              ;   in Loop: Header=BB4_447 Depth=3
	v_mad_u64_u32 v[52:53], s[22:23], v24, 24, v[59:60]
                                        ; implicit-def: $vgpr48_vgpr49
	flat_load_dword v4, v[52:53]
	s_waitcnt vmcnt(0) lgkmcnt(0)
	v_cmp_ne_u32_e32 vcc, 1, v4
	v_cmp_eq_u32_e64 s[22:23], 1, v4
	s_and_saveexec_b64 s[76:77], s[22:23]
	s_cbranch_execz .LBB4_465
; %bb.464:                              ;   in Loop: Header=BB4_447 Depth=3
	flat_load_dword v48, v[52:53] offset:4 glc
	s_waitcnt vmcnt(0) lgkmcnt(0)
	v_ashrrev_i32_e32 v49, 31, v48
.LBB4_465:                              ;   in Loop: Header=BB4_447 Depth=3
	s_or_b64 exec, exec, s[76:77]
	s_orn2_b64 s[22:23], vcc, exec
.LBB4_466:                              ;   in Loop: Header=BB4_447 Depth=3
	s_or_b64 exec, exec, s[74:75]
	s_and_saveexec_b64 s[74:75], s[22:23]
; %bb.467:                              ;   in Loop: Header=BB4_447 Depth=3
	v_mad_i64_i32 v[48:49], s[22:23], v24, v12, 0
; %bb.468:                              ;   in Loop: Header=BB4_447 Depth=3
	s_or_b64 exec, exec, s[74:75]
	v_add_co_u32_e32 v4, vcc, v50, v48
	v_addc_co_u32_e32 v5, vcc, v51, v49, vcc
	ds_write_b64 v0, v[4:5] offset:720
	v_and_b32_e32 v4, 0x2000, v13
	v_cmp_ne_u32_e32 vcc, 0, v4
	s_and_saveexec_b64 s[22:23], vcc
	s_cbranch_execz .LBB4_470
; %bb.469:                              ;   in Loop: Header=BB4_447 Depth=3
	ds_read_b64 v[4:5], v0 offset:872
	s_waitcnt lgkmcnt(0)
	v_add_co_u32_e32 v4, vcc, 1, v4
	v_addc_co_u32_e32 v5, vcc, 0, v5, vcc
	ds_write_b64 v0, v[4:5] offset:872
.LBB4_470:                              ;   in Loop: Header=BB4_447 Depth=3
	s_or_b64 exec, exec, s[22:23]
	v_mov_b32_e32 v49, v9
	v_mov_b32_e32 v48, v8
.LBB4_471:                              ;   in Loop: Header=BB4_447 Depth=3
	s_or_b64 exec, exec, s[72:73]
	s_and_saveexec_b64 s[22:23], s[6:7]
	s_cbranch_execz .LBB4_490
; %bb.472:                              ;   in Loop: Header=BB4_447 Depth=3
	s_and_saveexec_b64 s[72:73], s[28:29]
	s_xor_b64 s[72:73], exec, s[72:73]
	s_cbranch_execz .LBB4_487
; %bb.473:                              ;   in Loop: Header=BB4_447 Depth=3
	s_and_saveexec_b64 s[74:75], s[12:13]
	s_cbranch_execz .LBB4_486
; %bb.474:                              ;   in Loop: Header=BB4_447 Depth=3
	s_mov_b64 s[78:79], exec
	v_mbcnt_lo_u32_b32 v4, s78, 0
	v_mbcnt_hi_u32_b32 v4, s79, v4
	v_cmp_eq_u32_e32 vcc, 0, v4
	s_waitcnt vmcnt(0) lgkmcnt(0)
	buffer_wbinvl1_vol
	s_and_saveexec_b64 s[76:77], vcc
	s_cbranch_execz .LBB4_476
; %bb.475:                              ;   in Loop: Header=BB4_447 Depth=3
	s_bcnt1_i32_b64 s78, s[78:79]
	v_mov_b32_e32 v4, s78
	v_mov_b32_e32 v5, v32
	ds_add_u64 v0, v[4:5]
	s_trap 2
.LBB4_476:                              ;   in Loop: Header=BB4_447 Depth=3
	s_or_b64 exec, exec, s[76:77]
	s_trap 2
	ds_read_b64 v[4:5], v0
	s_waitcnt lgkmcnt(0)
	v_add_co_u32_e32 v10, vcc, v10, v14
	v_addc_co_u32_e32 v11, vcc, 0, v11, vcc
	v_cmp_lt_u64_e32 vcc, v[4:5], v[10:11]
	s_and_saveexec_b64 s[76:77], vcc
	s_cbranch_execz .LBB4_485
; %bb.477:                              ;   in Loop: Header=BB4_447 Depth=3
	s_mov_b32 s30, 0
	s_mov_b64 s[78:79], 0
                                        ; implicit-def: $sgpr88_sgpr89
                                        ; implicit-def: $sgpr90_sgpr91
	s_branch .LBB4_479
.LBB4_478:                              ;   in Loop: Header=BB4_479 Depth=4
	s_or_b64 exec, exec, s[94:95]
	s_and_b64 s[92:93], exec, vcc
	s_or_b64 s[78:79], s[92:93], s[78:79]
	s_andn2_b64 s[88:89], s[88:89], exec
	s_and_b64 s[92:93], s[90:91], exec
	s_or_b64 s[88:89], s[88:89], s[92:93]
	s_andn2_b64 exec, exec, s[78:79]
	s_cbranch_execz .LBB4_483
.LBB4_479:                              ;   Parent Loop BB4_53 Depth=1
                                        ;     Parent Loop BB4_89 Depth=2
                                        ;       Parent Loop BB4_447 Depth=3
                                        ; =>      This Inner Loop Header: Depth=4
	s_add_i32 s30, s30, 1
	s_cmpk_lg_i32 s30, 0x2710
	s_cselect_b64 s[92:93], -1, 0
	s_and_b64 vcc, exec, s[92:93]
	s_cbranch_vccz .LBB4_481
; %bb.480:                              ;   in Loop: Header=BB4_479 Depth=4
	s_mov_b64 vcc, -1
	s_or_b64 s[90:91], s[90:91], exec
	s_and_saveexec_b64 s[94:95], s[92:93]
	s_cbranch_execz .LBB4_478
	s_branch .LBB4_482
.LBB4_481:                              ;   in Loop: Header=BB4_479 Depth=4
	s_trap 2
	ds_read_b64 v[4:5], v0
	s_andn2_b64 s[92:93], s[92:93], exec
	s_mov_b32 s30, 0
	s_waitcnt lgkmcnt(0)
	flat_load_dword v4, v[4:5] glc
	s_waitcnt vmcnt(0) lgkmcnt(0)
	buffer_wbinvl1_vol
	v_cmp_eq_u32_e32 vcc, 0, v4
	s_and_b64 s[94:95], vcc, exec
	s_or_b64 s[92:93], s[92:93], s[94:95]
	s_mov_b64 vcc, -1
	s_or_b64 s[90:91], s[90:91], exec
	s_and_saveexec_b64 s[94:95], s[92:93]
	s_cbranch_execz .LBB4_478
.LBB4_482:                              ;   in Loop: Header=BB4_479 Depth=4
	s_sleep 1
	s_trap 2
	ds_read_b64 v[4:5], v0
	s_waitcnt lgkmcnt(0)
	s_andn2_b64 s[90:91], s[90:91], exec
	v_cmp_ge_u64_e32 vcc, v[4:5], v[10:11]
	s_orn2_b64 vcc, vcc, exec
	s_branch .LBB4_478
.LBB4_483:                              ;   in Loop: Header=BB4_447 Depth=3
	s_or_b64 exec, exec, s[78:79]
	s_and_saveexec_b64 s[78:79], s[88:89]
	s_xor_b64 s[78:79], exec, s[78:79]
	s_cbranch_execz .LBB4_485
; %bb.484:                              ;   in Loop: Header=BB4_447 Depth=3
	ds_write_b32 v0, v31
	s_trap 2
.LBB4_485:                              ;   in Loop: Header=BB4_447 Depth=3
	s_or_b64 exec, exec, s[76:77]
	;;#ASMSTART
	s_wakeup
	;;#ASMEND
.LBB4_486:                              ;   in Loop: Header=BB4_447 Depth=3
	s_or_b64 exec, exec, s[74:75]
.LBB4_487:                              ;   in Loop: Header=BB4_447 Depth=3
	s_andn2_saveexec_b64 s[72:73], s[72:73]
	s_cbranch_execz .LBB4_489
; %bb.488:                              ;   in Loop: Header=BB4_447 Depth=3
	s_waitcnt vmcnt(0) lgkmcnt(0)
	buffer_wbinvl1_vol
	s_barrier
.LBB4_489:                              ;   in Loop: Header=BB4_447 Depth=3
	s_or_b64 exec, exec, s[72:73]
.LBB4_490:                              ;   in Loop: Header=BB4_447 Depth=3
	s_or_b64 exec, exec, s[22:23]
	s_trap 2
	ds_read_b32 v24, v0
	v_and_b32_e32 v4, 0x4000, v13
	v_cmp_ne_u32_e32 vcc, 0, v4
	s_xor_b64 s[22:23], s[14:15], -1
	s_and_b64 s[72:73], s[22:23], vcc
	s_and_saveexec_b64 s[22:23], s[72:73]
	s_cbranch_execz .LBB4_509
; %bb.491:                              ;   in Loop: Header=BB4_447 Depth=3
	s_and_saveexec_b64 s[72:73], s[28:29]
	s_xor_b64 s[72:73], exec, s[72:73]
	s_cbranch_execz .LBB4_506
; %bb.492:                              ;   in Loop: Header=BB4_447 Depth=3
	s_and_saveexec_b64 s[74:75], s[12:13]
	s_cbranch_execz .LBB4_505
; %bb.493:                              ;   in Loop: Header=BB4_447 Depth=3
	s_mov_b64 s[78:79], exec
	v_mbcnt_lo_u32_b32 v4, s78, 0
	v_mbcnt_hi_u32_b32 v4, s79, v4
	v_cmp_eq_u32_e32 vcc, 0, v4
	s_waitcnt vmcnt(0) lgkmcnt(0)
	buffer_wbinvl1_vol
	s_and_saveexec_b64 s[76:77], vcc
	s_cbranch_execz .LBB4_495
; %bb.494:                              ;   in Loop: Header=BB4_447 Depth=3
	s_bcnt1_i32_b64 s78, s[78:79]
	v_mov_b32_e32 v4, s78
	v_mov_b32_e32 v5, v32
	ds_add_u64 v0, v[4:5]
	s_trap 2
.LBB4_495:                              ;   in Loop: Header=BB4_447 Depth=3
	s_or_b64 exec, exec, s[76:77]
	s_trap 2
	ds_read_b64 v[4:5], v0
	s_waitcnt lgkmcnt(0)
	v_add_co_u32_e32 v10, vcc, v10, v14
	v_addc_co_u32_e32 v11, vcc, 0, v11, vcc
	v_cmp_lt_u64_e32 vcc, v[4:5], v[10:11]
	s_and_saveexec_b64 s[76:77], vcc
	s_cbranch_execz .LBB4_504
; %bb.496:                              ;   in Loop: Header=BB4_447 Depth=3
	s_mov_b32 s30, 0
	s_mov_b64 s[78:79], 0
                                        ; implicit-def: $sgpr88_sgpr89
                                        ; implicit-def: $sgpr90_sgpr91
	s_branch .LBB4_498
.LBB4_497:                              ;   in Loop: Header=BB4_498 Depth=4
	s_or_b64 exec, exec, s[94:95]
	s_and_b64 s[92:93], exec, vcc
	s_or_b64 s[78:79], s[92:93], s[78:79]
	s_andn2_b64 s[88:89], s[88:89], exec
	s_and_b64 s[92:93], s[90:91], exec
	s_or_b64 s[88:89], s[88:89], s[92:93]
	s_andn2_b64 exec, exec, s[78:79]
	s_cbranch_execz .LBB4_502
.LBB4_498:                              ;   Parent Loop BB4_53 Depth=1
                                        ;     Parent Loop BB4_89 Depth=2
                                        ;       Parent Loop BB4_447 Depth=3
                                        ; =>      This Inner Loop Header: Depth=4
	s_add_i32 s30, s30, 1
	s_cmpk_lg_i32 s30, 0x2710
	s_cselect_b64 s[92:93], -1, 0
	s_and_b64 vcc, exec, s[92:93]
	s_cbranch_vccz .LBB4_500
; %bb.499:                              ;   in Loop: Header=BB4_498 Depth=4
	s_mov_b64 vcc, -1
	s_or_b64 s[90:91], s[90:91], exec
	s_and_saveexec_b64 s[94:95], s[92:93]
	s_cbranch_execz .LBB4_497
	s_branch .LBB4_501
.LBB4_500:                              ;   in Loop: Header=BB4_498 Depth=4
	s_trap 2
	ds_read_b64 v[4:5], v0
	s_andn2_b64 s[92:93], s[92:93], exec
	s_mov_b32 s30, 0
	s_waitcnt lgkmcnt(0)
	flat_load_dword v4, v[4:5] glc
	s_waitcnt vmcnt(0) lgkmcnt(0)
	buffer_wbinvl1_vol
	v_cmp_eq_u32_e32 vcc, 0, v4
	s_and_b64 s[94:95], vcc, exec
	s_or_b64 s[92:93], s[92:93], s[94:95]
	s_mov_b64 vcc, -1
	s_or_b64 s[90:91], s[90:91], exec
	s_and_saveexec_b64 s[94:95], s[92:93]
	s_cbranch_execz .LBB4_497
.LBB4_501:                              ;   in Loop: Header=BB4_498 Depth=4
	s_sleep 1
	s_trap 2
	ds_read_b64 v[4:5], v0
	s_waitcnt lgkmcnt(0)
	s_andn2_b64 s[90:91], s[90:91], exec
	v_cmp_ge_u64_e32 vcc, v[4:5], v[10:11]
	s_orn2_b64 vcc, vcc, exec
	s_branch .LBB4_497
.LBB4_502:                              ;   in Loop: Header=BB4_447 Depth=3
	s_or_b64 exec, exec, s[78:79]
	s_and_saveexec_b64 s[78:79], s[88:89]
	s_xor_b64 s[78:79], exec, s[78:79]
	s_cbranch_execz .LBB4_504
; %bb.503:                              ;   in Loop: Header=BB4_447 Depth=3
	ds_write_b32 v0, v31
	s_trap 2
.LBB4_504:                              ;   in Loop: Header=BB4_447 Depth=3
	s_or_b64 exec, exec, s[76:77]
	;;#ASMSTART
	s_wakeup
	;;#ASMEND
.LBB4_505:                              ;   in Loop: Header=BB4_447 Depth=3
	s_or_b64 exec, exec, s[74:75]
.LBB4_506:                              ;   in Loop: Header=BB4_447 Depth=3
	s_andn2_saveexec_b64 s[72:73], s[72:73]
	s_cbranch_execz .LBB4_508
; %bb.507:                              ;   in Loop: Header=BB4_447 Depth=3
	s_waitcnt vmcnt(0) lgkmcnt(0)
	buffer_wbinvl1_vol
	s_barrier
.LBB4_508:                              ;   in Loop: Header=BB4_447 Depth=3
	s_or_b64 exec, exec, s[72:73]
.LBB4_509:                              ;   in Loop: Header=BB4_447 Depth=3
	s_or_b64 exec, exec, s[22:23]
	s_trap 2
	ds_read_b64 v[8:9], v0
	v_sub_u32_e32 v4, v33, v43
	v_min_i32_e32 v42, v42, v4
	s_waitcnt lgkmcnt(0)
	v_cmp_eq_u64_e32 vcc, 0, v[8:9]
	s_cbranch_vccnz .LBB4_517
; %bb.510:                              ;   in Loop: Header=BB4_447 Depth=3
	s_trap 2
	ds_read_b64 v[52:53], v0
	s_waitcnt lgkmcnt(0)
	v_cmp_eq_u64_e32 vcc, 0, v[52:53]
	s_cbranch_vccnz .LBB4_517
; %bb.511:                              ;   in Loop: Header=BB4_447 Depth=3
	s_mov_b64 s[22:23], -1
	s_and_saveexec_b64 s[72:73], s[16:17]
	s_cbranch_execz .LBB4_513
; %bb.512:                              ;   in Loop: Header=BB4_447 Depth=3
	ds_read_b32 v4, v0 offset:720
	s_waitcnt lgkmcnt(0)
	v_and_b32_e32 v4, 15, v4
	v_cmp_eq_u32_e32 vcc, 0, v4
	s_orn2_b64 s[22:23], vcc, exec
.LBB4_513:                              ;   in Loop: Header=BB4_447 Depth=3
	s_or_b64 exec, exec, s[72:73]
	s_and_saveexec_b64 s[72:73], s[10:11]
	s_cbranch_execz .LBB4_515
; %bb.514:                              ;   in Loop: Header=BB4_447 Depth=3
	ds_read_b32 v4, v0 offset:784
	s_waitcnt lgkmcnt(0)
	v_and_b32_e32 v4, 15, v4
	v_cmp_eq_u32_e32 vcc, 0, v4
	s_and_b64 s[74:75], s[22:23], vcc
	s_andn2_b64 s[22:23], s[22:23], exec
	s_and_b64 s[74:75], s[74:75], exec
	s_or_b64 s[22:23], s[22:23], s[74:75]
.LBB4_515:                              ;   in Loop: Header=BB4_447 Depth=3
	s_or_b64 exec, exec, s[72:73]
	v_cmp_eq_u32_e32 vcc, 0, v24
	s_xor_b64 s[22:23], s[22:23], -1
	v_cndmask_b32_e32 v24, 0, v42, vcc
	v_cndmask_b32_e64 v4, 0, 1, s[22:23]
	s_mov_b64 s[74:75], -1
	v_cmp_ne_u32_e32 vcc, 0, v4
	v_mov_b32_e32 v25, 0
	v_mov_b32_e32 v54, v24
	;; [unrolled: 1-line block ×4, first 2 shown]
	s_cbranch_vccz .LBB4_518
; %bb.516:                              ;   in Loop: Header=BB4_447 Depth=3
	s_and_saveexec_b64 s[22:23], s[74:75]
	s_cbranch_execnz .LBB4_531
	s_branch .LBB4_539
.LBB4_517:                              ;   in Loop: Header=BB4_447 Depth=3
	s_mov_b64 s[22:23], 0
	s_and_saveexec_b64 s[72:73], s[6:7]
	s_cbranch_execnz .LBB4_540
	s_branch .LBB4_558
.LBB4_518:                              ;   in Loop: Header=BB4_447 Depth=3
	v_ashrrev_i32_e32 v4, 31, v24
	v_lshrrev_b32_e32 v4, 20, v4
	v_add_u32_e32 v4, v24, v4
	v_ashrrev_i32_e32 v25, 12, v4
	v_sub_u32_e32 v46, v25, v36
	v_cmp_lt_i32_e32 vcc, 0, v46
	s_and_saveexec_b64 s[22:23], vcc
	s_cbranch_execz .LBB4_522
; %bb.519:                              ;   in Loop: Header=BB4_447 Depth=3
	v_mov_b32_e32 v55, v53
	v_mov_b32_e32 v41, v9
	s_mov_b64 s[72:73], 0
	v_mov_b32_e32 v54, v52
	v_mov_b32_e32 v40, v8
.LBB4_520:                              ;   Parent Loop BB4_53 Depth=1
                                        ;     Parent Loop BB4_89 Depth=2
                                        ;       Parent Loop BB4_447 Depth=3
                                        ; =>      This Inner Loop Header: Depth=4
	v_add_co_u32_e32 v18, vcc, v38, v40
	v_addc_co_u32_e32 v19, vcc, v39, v41, vcc
	global_load_dwordx4 v[4:7], v[18:19], off glc slc
	global_load_dwordx4 v[26:29], v[18:19], off offset:1024 glc slc
	global_load_dwordx4 v[56:59], v[18:19], off offset:2048 glc slc
	s_nop 0
	global_load_dwordx4 v[18:21], v[18:19], off offset:3072 glc slc
	s_waitcnt vmcnt(0)
	v_add_co_u32_e32 v60, vcc, v38, v54
	v_addc_co_u32_e32 v61, vcc, v39, v55, vcc
	v_add_co_u32_e32 v40, vcc, v40, v15
	v_addc_co_u32_e32 v41, vcc, 0, v41, vcc
	v_add_co_u32_e32 v54, vcc, v54, v15
	v_sub_u32_e32 v46, v46, v14
	v_addc_co_u32_e32 v55, vcc, 0, v55, vcc
	v_cmp_gt_i32_e32 vcc, 1, v46
	s_or_b64 s[72:73], vcc, s[72:73]
	s_waitcnt vmcnt(0)
	global_store_dwordx4 v[60:61], v[4:7], off glc slc
	global_store_dwordx4 v[60:61], v[26:29], off offset:1024 glc slc
	global_store_dwordx4 v[60:61], v[56:59], off offset:2048 glc slc
	global_store_dwordx4 v[60:61], v[18:21], off offset:3072 glc slc
	s_andn2_b64 exec, exec, s[72:73]
	s_cbranch_execnz .LBB4_520
; %bb.521:                              ;   in Loop: Header=BB4_447 Depth=3
	s_or_b64 exec, exec, s[72:73]
	buffer_load_dword v59, off, s[0:3], s33 offset:60 ; 4-byte Folded Reload
	buffer_load_dword v60, off, s[0:3], s33 offset:64 ; 4-byte Folded Reload
	;; [unrolled: 1-line block ×4, first 2 shown]
.LBB4_522:                              ;   in Loop: Header=BB4_447 Depth=3
	s_or_b64 exec, exec, s[22:23]
	v_lshlrev_b32_e32 v40, 12, v25
	v_cmp_ne_u32_e32 vcc, v24, v40
	s_mov_b64 s[74:75], 0
	v_mov_b32_e32 v25, 0
                                        ; implicit-def: $vgpr54
                                        ; implicit-def: $vgpr55
                                        ; implicit-def: $vgpr47
	s_and_saveexec_b64 s[72:73], vcc
	s_cbranch_execz .LBB4_530
; %bb.523:                              ;   in Loop: Header=BB4_447 Depth=3
	buffer_load_dword v6, off, s[0:3], s33 offset:76 ; 4-byte Folded Reload
	v_lshlrev_b32_e32 v5, 6, v46
	v_sub_u32_e32 v4, v24, v40
	s_waitcnt vmcnt(0)
	v_sub_u32_e32 v5, v6, v5
	v_ashrrev_i32_e32 v6, 31, v5
	v_lshrrev_b32_e32 v6, 26, v6
	v_add_u32_e32 v6, v5, v6
	v_ashrrev_i32_e32 v7, 6, v6
	v_and_b32_e32 v6, 0xffffffc0, v6
	v_sub_u32_e32 v41, v5, v6
	v_lshlrev_b32_e32 v5, 4, v41
	v_lshl_add_u32 v54, v7, 10, v5
	v_ashrrev_i32_e32 v5, 31, v4
	v_lshrrev_b32_e32 v5, 22, v5
	v_add_u32_e32 v5, v4, v5
	v_and_b32_e32 v46, 0xfffffc00, v5
	v_sub_u32_e32 v57, v4, v46
	v_ashrrev_i32_e32 v6, 10, v5
	v_cmp_lt_i32_e32 vcc, 15, v57
	v_sub_u32_e32 v25, v4, v54
	v_addc_co_u32_e64 v4, s[22:23], 0, v6, vcc
	v_sub_u32_e32 v56, v4, v7
	v_cmp_lt_i32_e64 s[22:23], 15, v25
	s_and_saveexec_b64 s[74:75], s[22:23]
	s_cbranch_execz .LBB4_527
; %bb.524:                              ;   in Loop: Header=BB4_447 Depth=3
	v_add_u32_e32 v54, v54, v40
	v_ashrrev_i32_e32 v55, 31, v54
	s_mov_b64 s[76:77], 0
.LBB4_525:                              ;   Parent Loop BB4_53 Depth=1
                                        ;     Parent Loop BB4_89 Depth=2
                                        ;       Parent Loop BB4_447 Depth=3
                                        ; =>      This Inner Loop Header: Depth=4
	v_add_co_u32_e64 v4, s[22:23], v8, v54
	v_addc_co_u32_e64 v5, s[22:23], v9, v55, s[22:23]
	global_load_dwordx4 v[4:7], v[4:5], off glc slc
	v_add_co_u32_e64 v18, s[22:23], v52, v54
	v_addc_co_u32_e64 v19, s[22:23], v53, v55, s[22:23]
	v_add_co_u32_e64 v54, s[22:23], v54, v34
	v_sub_u32_e32 v25, v25, v34
	v_addc_co_u32_e64 v55, s[22:23], 0, v55, s[22:23]
	v_cmp_gt_i32_e64 s[22:23], 16, v25
	v_sub_u32_e32 v56, v56, v14
	s_or_b64 s[76:77], s[22:23], s[76:77]
	s_waitcnt vmcnt(0)
	global_store_dwordx4 v[18:19], v[4:7], off glc slc
	s_andn2_b64 exec, exec, s[76:77]
	s_cbranch_execnz .LBB4_525
; %bb.526:                              ;   in Loop: Header=BB4_447 Depth=3
	s_or_b64 exec, exec, s[76:77]
.LBB4_527:                              ;   in Loop: Header=BB4_447 Depth=3
	s_or_b64 exec, exec, s[74:75]
	v_and_b32_e32 v58, 15, v24
	v_cndmask_b32_e32 v54, v57, v58, vcc
	v_mov_b32_e32 v25, 0
	v_cmp_ne_u32_e64 s[22:23], 0, v54
	s_mov_b64 s[76:77], 0
                                        ; implicit-def: $vgpr55
                                        ; implicit-def: $vgpr47
	s_and_saveexec_b64 s[74:75], s[22:23]
	s_cbranch_execz .LBB4_529
; %bb.528:                              ;   in Loop: Header=BB4_447 Depth=3
	v_sub_u32_e32 v4, v57, v58
	v_cndmask_b32_e32 v4, 0, v4, vcc
	v_cmp_lt_i32_e32 vcc, 0, v56
	v_add3_u32 v25, v46, v40, v4
	v_cndmask_b32_e32 v4, 0, v14, vcc
	v_sub_u32_e32 v4, v4, v56
	v_lshl_add_u32 v55, v4, 6, v41
	v_ashrrev_i32_e32 v4, 31, v55
	v_lshrrev_b32_e32 v4, 26, v4
	v_add_u32_e32 v4, v55, v4
	v_ashrrev_i32_e32 v47, 6, v4
	s_mov_b64 s[76:77], exec
.LBB4_529:                              ;   in Loop: Header=BB4_447 Depth=3
	s_or_b64 exec, exec, s[74:75]
	s_and_b64 s[74:75], s[76:77], exec
.LBB4_530:                              ;   in Loop: Header=BB4_447 Depth=3
	s_or_b64 exec, exec, s[72:73]
	s_and_saveexec_b64 s[22:23], s[74:75]
	s_cbranch_execz .LBB4_539
.LBB4_531:                              ;   in Loop: Header=BB4_447 Depth=3
	v_ashrrev_i32_e32 v4, 31, v54
	v_lshrrev_b32_e32 v4, 22, v4
	v_add_u32_e32 v4, v54, v4
	v_ashrrev_i32_e32 v46, 10, v4
	v_sub_u32_e32 v40, v46, v47
	v_ashrrev_i32_e32 v4, 31, v55
	v_cmp_lt_i32_e32 vcc, 0, v40
	v_lshrrev_b32_e32 v41, 26, v4
	s_and_saveexec_b64 s[72:73], vcc
	s_cbranch_execz .LBB4_535
; %bb.532:                              ;   in Loop: Header=BB4_447 Depth=3
	v_add_u32_e32 v4, v55, v41
	v_and_b32_e32 v4, 0xffffffc0, v4
	v_sub_u32_e32 v4, v55, v4
	v_lshlrev_b32_e32 v5, 10, v47
	v_add3_u32 v47, v25, v4, v5
	v_ashrrev_i32_e32 v56, 31, v47
	s_mov_b64 s[74:75], 0
.LBB4_533:                              ;   Parent Loop BB4_53 Depth=1
                                        ;     Parent Loop BB4_89 Depth=2
                                        ;       Parent Loop BB4_447 Depth=3
                                        ; =>      This Inner Loop Header: Depth=4
	v_add_co_u32_e32 v4, vcc, v47, v8
	v_addc_co_u32_e32 v5, vcc, v56, v9, vcc
	flat_load_ubyte v6, v[4:5] glc slc
	flat_load_ubyte v7, v[4:5] offset:64 glc slc
	flat_load_ubyte v18, v[4:5] offset:128 glc slc
	;; [unrolled: 1-line block ×11, first 2 shown]
	s_waitcnt vmcnt(0)
	flat_load_ubyte v59, v[4:5] offset:768 glc slc
	flat_load_ubyte v60, v[4:5] offset:832 glc slc
	;; [unrolled: 1-line block ×4, first 2 shown]
	v_add_co_u32_e32 v4, vcc, v47, v52
	v_addc_co_u32_e32 v5, vcc, v56, v53, vcc
	v_add_co_u32_e32 v8, vcc, v8, v34
	v_addc_co_u32_e32 v9, vcc, 0, v9, vcc
	v_add_co_u32_e32 v52, vcc, v52, v34
	v_sub_u32_e32 v40, v40, v14
	v_addc_co_u32_e32 v53, vcc, 0, v53, vcc
	v_cmp_gt_i32_e32 vcc, 1, v40
	s_or_b64 s[74:75], vcc, s[74:75]
	s_waitcnt lgkmcnt(0)
	flat_store_byte v[4:5], v6 glc slc
	flat_store_byte v[4:5], v7 offset:64 glc slc
	flat_store_byte v[4:5], v18 offset:128 glc slc
	;; [unrolled: 1-line block ×11, first 2 shown]
	s_waitcnt vmcnt(0)
	flat_store_byte v[4:5], v59 offset:768 glc slc
	flat_store_byte v[4:5], v60 offset:832 glc slc
	;; [unrolled: 1-line block ×4, first 2 shown]
	s_andn2_b64 exec, exec, s[74:75]
	s_cbranch_execnz .LBB4_533
; %bb.534:                              ;   in Loop: Header=BB4_447 Depth=3
	s_or_b64 exec, exec, s[74:75]
	buffer_load_dword v59, off, s[0:3], s33 offset:60 ; 4-byte Folded Reload
	buffer_load_dword v60, off, s[0:3], s33 offset:64 ; 4-byte Folded Reload
	;; [unrolled: 1-line block ×4, first 2 shown]
.LBB4_535:                              ;   in Loop: Header=BB4_447 Depth=3
	s_or_b64 exec, exec, s[72:73]
	v_lshlrev_b32_e32 v8, 10, v46
	v_cmp_ne_u32_e32 vcc, v54, v8
	s_and_b64 exec, exec, vcc
	s_cbranch_execz .LBB4_539
; %bb.536:                              ;   in Loop: Header=BB4_447 Depth=3
	v_add_u32_e32 v4, v55, v41
	v_and_b32_e32 v4, 0xffffffc0, v4
	v_sub_u32_e32 v4, v55, v4
	v_lshlrev_b32_e32 v5, 6, v40
	v_sub_u32_e32 v4, v4, v5
	v_add_u32_e32 v8, v8, v4
	v_sub_u32_e32 v52, v54, v8
	v_cmp_lt_i32_e32 vcc, 0, v52
	s_and_b64 exec, exec, vcc
	s_cbranch_execz .LBB4_539
; %bb.537:                              ;   in Loop: Header=BB4_447 Depth=3
	v_add_u32_e32 v25, v8, v25
	s_trap 2
	ds_read_b64 v[8:9], v0
	v_ashrrev_i32_e32 v53, 31, v25
	s_mov_b64 s[72:73], 0
.LBB4_538:                              ;   Parent Loop BB4_53 Depth=1
                                        ;     Parent Loop BB4_89 Depth=2
                                        ;       Parent Loop BB4_447 Depth=3
                                        ; =>      This Inner Loop Header: Depth=4
	s_waitcnt lgkmcnt(0)
	v_add_co_u32_e32 v4, vcc, v8, v25
	v_addc_co_u32_e32 v5, vcc, v9, v53, vcc
	flat_load_ubyte v6, v[4:5] glc slc
	v_add_co_u32_e32 v25, vcc, v25, v3
	v_sub_u32_e32 v52, v52, v3
	v_addc_co_u32_e32 v53, vcc, 0, v53, vcc
	v_cmp_gt_i32_e32 vcc, 1, v52
	s_or_b64 s[72:73], vcc, s[72:73]
	s_waitcnt vmcnt(0) lgkmcnt(0)
	flat_store_byte v[4:5], v6 glc slc
	s_andn2_b64 exec, exec, s[72:73]
	s_cbranch_execnz .LBB4_538
.LBB4_539:                              ;   in Loop: Header=BB4_447 Depth=3
	s_or_b64 exec, exec, s[22:23]
	v_cmp_lt_i32_e64 s[22:23], 0, v24
	s_and_saveexec_b64 s[72:73], s[6:7]
	s_cbranch_execz .LBB4_558
.LBB4_540:                              ;   in Loop: Header=BB4_447 Depth=3
	s_and_saveexec_b64 s[74:75], s[28:29]
	s_xor_b64 s[74:75], exec, s[74:75]
	s_cbranch_execz .LBB4_555
; %bb.541:                              ;   in Loop: Header=BB4_447 Depth=3
	s_and_saveexec_b64 s[76:77], s[12:13]
	s_cbranch_execz .LBB4_554
; %bb.542:                              ;   in Loop: Header=BB4_447 Depth=3
	s_mov_b64 s[88:89], exec
	v_mbcnt_lo_u32_b32 v4, s88, 0
	v_mbcnt_hi_u32_b32 v4, s89, v4
	v_cmp_eq_u32_e32 vcc, 0, v4
	s_waitcnt vmcnt(0) lgkmcnt(0)
	buffer_wbinvl1_vol
	s_and_saveexec_b64 s[78:79], vcc
	s_cbranch_execz .LBB4_544
; %bb.543:                              ;   in Loop: Header=BB4_447 Depth=3
	s_bcnt1_i32_b64 s88, s[88:89]
	v_mov_b32_e32 v4, s88
	v_mov_b32_e32 v5, v32
	ds_add_u64 v0, v[4:5]
	s_trap 2
.LBB4_544:                              ;   in Loop: Header=BB4_447 Depth=3
	s_or_b64 exec, exec, s[78:79]
	s_trap 2
	ds_read_b64 v[4:5], v0
	s_waitcnt lgkmcnt(0)
	v_add_co_u32_e32 v10, vcc, v10, v14
	v_addc_co_u32_e32 v11, vcc, 0, v11, vcc
	v_cmp_lt_u64_e32 vcc, v[4:5], v[10:11]
	s_and_saveexec_b64 s[78:79], vcc
	s_cbranch_execz .LBB4_553
; %bb.545:                              ;   in Loop: Header=BB4_447 Depth=3
	s_mov_b32 s34, 0
	s_mov_b64 s[88:89], 0
                                        ; implicit-def: $sgpr90_sgpr91
                                        ; implicit-def: $sgpr92_sgpr93
	s_branch .LBB4_547
.LBB4_546:                              ;   in Loop: Header=BB4_547 Depth=4
	s_or_b64 exec, exec, s[30:31]
	s_and_b64 s[94:95], exec, vcc
	s_or_b64 s[88:89], s[94:95], s[88:89]
	s_andn2_b64 s[90:91], s[90:91], exec
	s_and_b64 s[94:95], s[92:93], exec
	s_or_b64 s[90:91], s[90:91], s[94:95]
	s_andn2_b64 exec, exec, s[88:89]
	s_cbranch_execz .LBB4_551
.LBB4_547:                              ;   Parent Loop BB4_53 Depth=1
                                        ;     Parent Loop BB4_89 Depth=2
                                        ;       Parent Loop BB4_447 Depth=3
                                        ; =>      This Inner Loop Header: Depth=4
	s_add_i32 s34, s34, 1
	s_cmpk_lg_i32 s34, 0x2710
	s_cselect_b64 s[94:95], -1, 0
	s_and_b64 vcc, exec, s[94:95]
	s_cbranch_vccz .LBB4_549
; %bb.548:                              ;   in Loop: Header=BB4_547 Depth=4
	s_mov_b64 vcc, -1
	s_or_b64 s[92:93], s[92:93], exec
	s_and_saveexec_b64 s[30:31], s[94:95]
	s_cbranch_execz .LBB4_546
	s_branch .LBB4_550
.LBB4_549:                              ;   in Loop: Header=BB4_547 Depth=4
	s_trap 2
	ds_read_b64 v[4:5], v0
	s_andn2_b64 s[94:95], s[94:95], exec
	s_mov_b32 s34, 0
	s_waitcnt lgkmcnt(0)
	flat_load_dword v4, v[4:5] glc
	s_waitcnt vmcnt(0) lgkmcnt(0)
	buffer_wbinvl1_vol
	v_cmp_eq_u32_e32 vcc, 0, v4
	s_and_b64 vcc, vcc, exec
	s_or_b64 s[94:95], s[94:95], vcc
	s_mov_b64 vcc, -1
	s_or_b64 s[92:93], s[92:93], exec
	s_and_saveexec_b64 s[30:31], s[94:95]
	s_cbranch_execz .LBB4_546
.LBB4_550:                              ;   in Loop: Header=BB4_547 Depth=4
	s_sleep 1
	s_trap 2
	ds_read_b64 v[4:5], v0
	s_waitcnt lgkmcnt(0)
	s_andn2_b64 s[92:93], s[92:93], exec
	v_cmp_ge_u64_e32 vcc, v[4:5], v[10:11]
	s_orn2_b64 vcc, vcc, exec
	s_branch .LBB4_546
.LBB4_551:                              ;   in Loop: Header=BB4_447 Depth=3
	s_or_b64 exec, exec, s[88:89]
	s_and_saveexec_b64 s[88:89], s[90:91]
	s_xor_b64 s[88:89], exec, s[88:89]
	s_cbranch_execz .LBB4_553
; %bb.552:                              ;   in Loop: Header=BB4_447 Depth=3
	ds_write_b32 v0, v31
	s_trap 2
.LBB4_553:                              ;   in Loop: Header=BB4_447 Depth=3
	s_or_b64 exec, exec, s[78:79]
	;;#ASMSTART
	s_wakeup
	;;#ASMEND
.LBB4_554:                              ;   in Loop: Header=BB4_447 Depth=3
	s_or_b64 exec, exec, s[76:77]
.LBB4_555:                              ;   in Loop: Header=BB4_447 Depth=3
	s_andn2_saveexec_b64 s[74:75], s[74:75]
	s_cbranch_execz .LBB4_557
; %bb.556:                              ;   in Loop: Header=BB4_447 Depth=3
	s_waitcnt vmcnt(0) lgkmcnt(0)
	buffer_wbinvl1_vol
	s_barrier
.LBB4_557:                              ;   in Loop: Header=BB4_447 Depth=3
	s_or_b64 exec, exec, s[74:75]
.LBB4_558:                              ;   in Loop: Header=BB4_447 Depth=3
	s_or_b64 exec, exec, s[72:73]
	v_and_b32_e32 v4, 16, v13
	v_cmp_ne_u32_e32 vcc, 0, v4
	s_and_b64 s[72:73], vcc, s[22:23]
	s_and_saveexec_b64 s[22:23], s[72:73]
	s_cbranch_execz .LBB4_560
; %bb.559:                              ;   in Loop: Header=BB4_447 Depth=3
	s_waitcnt vmcnt(0) lgkmcnt(0)
	buffer_wbinvl1_vol
.LBB4_560:                              ;   in Loop: Header=BB4_447 Depth=3
	s_or_b64 exec, exec, s[22:23]
	v_and_b32_e32 v4, 32, v13
	v_cmp_ne_u32_e32 vcc, 0, v4
	s_and_saveexec_b64 s[22:23], vcc
	s_cbranch_execz .LBB4_446
; %bb.561:                              ;   in Loop: Header=BB4_447 Depth=3
	v_add_co_u32_e32 v48, vcc, 2, v48
	v_addc_co_u32_e32 v49, vcc, 0, v49, vcc
	flat_store_dwordx2 v[16:17], v[48:49]
	s_branch .LBB4_446
.LBB4_562:                              ;   in Loop: Header=BB4_89 Depth=2
	s_or_b64 exec, exec, s[60:61]
.LBB4_563:                              ;   in Loop: Header=BB4_89 Depth=2
	s_or_b64 exec, exec, s[58:59]
	v_cmp_gt_i32_e32 vcc, 2, v8
	s_and_saveexec_b64 s[58:59], vcc
	s_cbranch_execz .LBB4_88
; %bb.564:                              ;   in Loop: Header=BB4_89 Depth=2
	v_cmp_eq_u32_e64 s[62:63], 0, v8
	s_mov_b64 s[60:61], 0
	s_branch .LBB4_566
.LBB4_565:                              ;   in Loop: Header=BB4_566 Depth=3
	s_or_b64 exec, exec, s[22:23]
	v_add_u32_e32 v43, v42, v43
	s_mov_b64 s[62:63], 0
	s_andn2_b64 exec, exec, s[60:61]
	s_cbranch_execz .LBB4_87
.LBB4_566:                              ;   Parent Loop BB4_53 Depth=1
                                        ;     Parent Loop BB4_89 Depth=2
                                        ; =>    This Loop Header: Depth=3
                                        ;         Child Loop BB4_572 Depth 4
                                        ;         Child Loop BB4_596 Depth 4
	v_and_b32_e32 v4, 4, v13
	v_cmp_ne_u32_e32 vcc, 0, v4
	s_and_saveexec_b64 s[72:73], vcc
	s_cbranch_execz .LBB4_588
; %bb.567:                              ;   in Loop: Header=BB4_566 Depth=3
	v_add_co_u32_e32 v8, vcc, 2, v48
	v_addc_co_u32_e32 v9, vcc, 0, v49, vcc
	s_waitcnt vmcnt(0)
	v_cmp_lt_u64_e32 vcc, v[22:23], v[8:9]
	s_and_saveexec_b64 s[74:75], vcc
	s_cbranch_execz .LBB4_579
; %bb.568:                              ;   in Loop: Header=BB4_566 Depth=3
	v_and_b32_e32 v4, 64, v13
	s_mov_b32 s38, 0
	v_cmp_eq_u32_e32 vcc, 0, v4
	s_mov_b64 s[76:77], 0
                                        ; implicit-def: $sgpr78_sgpr79
                                        ; implicit-def: $sgpr88_sgpr89
                                        ; implicit-def: $sgpr90_sgpr91
	s_branch .LBB4_572
.LBB4_569:                              ;   in Loop: Header=BB4_572 Depth=4
	s_waitcnt vmcnt(0) lgkmcnt(0)
	v_cmp_ge_u64_e64 s[22:23], v[22:23], v[8:9]
	s_or_b64 s[30:31], s[30:31], exec
	s_orn2_b64 s[94:95], s[22:23], exec
.LBB4_570:                              ;   in Loop: Header=BB4_572 Depth=4
	s_or_b64 exec, exec, s[36:37]
	s_andn2_b64 s[22:23], s[90:91], exec
	s_and_b64 s[90:91], s[30:31], exec
	s_or_b64 s[90:91], s[22:23], s[90:91]
	s_andn2_b64 s[22:23], s[88:89], exec
	s_and_b64 s[88:89], s[94:95], exec
	s_or_b64 s[88:89], s[22:23], s[88:89]
.LBB4_571:                              ;   in Loop: Header=BB4_572 Depth=4
	s_or_b64 exec, exec, s[92:93]
	s_and_b64 s[22:23], exec, s[88:89]
	s_or_b64 s[76:77], s[22:23], s[76:77]
	s_andn2_b64 s[22:23], s[78:79], exec
	s_and_b64 s[78:79], s[90:91], exec
	s_or_b64 s[78:79], s[22:23], s[78:79]
	s_andn2_b64 exec, exec, s[76:77]
	s_cbranch_execz .LBB4_576
.LBB4_572:                              ;   Parent Loop BB4_53 Depth=1
                                        ;     Parent Loop BB4_89 Depth=2
                                        ;       Parent Loop BB4_566 Depth=3
                                        ; =>      This Inner Loop Header: Depth=4
	s_sleep 1
	s_waitcnt vmcnt(0) lgkmcnt(0)
	flat_load_dwordx2 v[22:23], v[16:17] glc
	s_or_b64 s[90:91], s[90:91], exec
	s_or_b64 s[88:89], s[88:89], exec
                                        ; implicit-def: $vgpr24
	s_and_saveexec_b64 s[92:93], vcc
	s_cbranch_execz .LBB4_571
; %bb.573:                              ;   in Loop: Header=BB4_572 Depth=4
	s_cmpk_lt_i32 s38, 0x270f
	s_cselect_b64 s[34:35], -1, 0
	s_cmpk_gt_i32 s38, 0x270e
	s_mov_b64 s[94:95], -1
	s_cbranch_scc0 .LBB4_575
; %bb.574:                              ;   in Loop: Header=BB4_572 Depth=4
	s_trap 2
	ds_read_b64 v[4:5], v0
	s_andn2_b64 s[34:35], s[34:35], exec
	s_mov_b32 s38, 0
	s_mov_b64 s[30:31], 0
	s_waitcnt vmcnt(0) lgkmcnt(0)
	flat_load_dword v24, v[4:5] glc
	s_waitcnt vmcnt(0) lgkmcnt(0)
	buffer_wbinvl1_vol
	v_cmp_eq_u32_e64 s[22:23], 0, v24
	s_and_b64 s[22:23], s[22:23], exec
	s_or_b64 s[34:35], s[34:35], s[22:23]
	s_and_saveexec_b64 s[36:37], s[34:35]
	s_cbranch_execz .LBB4_570
	s_branch .LBB4_569
.LBB4_575:                              ;   in Loop: Header=BB4_572 Depth=4
	s_add_i32 s38, s38, 1
	s_mov_b64 s[30:31], -1
                                        ; implicit-def: $vgpr24
	s_and_saveexec_b64 s[36:37], s[34:35]
	s_cbranch_execz .LBB4_570
	s_branch .LBB4_569
.LBB4_576:                              ;   in Loop: Header=BB4_566 Depth=3
	s_or_b64 exec, exec, s[76:77]
	s_xor_b64 s[22:23], s[78:79], -1
	s_and_saveexec_b64 s[76:77], s[22:23]
	s_xor_b64 s[22:23], exec, s[76:77]
	s_cbranch_execz .LBB4_578
; %bb.577:                              ;   in Loop: Header=BB4_566 Depth=3
	v_or_b32_e32 v13, 64, v13
	s_waitcnt lgkmcnt(0)
	ds_write_b32 v0, v24
	s_trap 2
.LBB4_578:                              ;   in Loop: Header=BB4_566 Depth=3
	s_or_b64 exec, exec, s[22:23]
.LBB4_579:                              ;   in Loop: Header=BB4_566 Depth=3
	s_or_b64 exec, exec, s[74:75]
	v_and_b32_e32 v4, 0x100, v13
	v_cmp_ne_u32_e32 vcc, 0, v4
	v_and_b32_e32 v24, 7, v48
	s_mov_b64 s[22:23], -1
	;;#ASMSTART
	s_wakeup
	;;#ASMEND
                                        ; implicit-def: $vgpr48_vgpr49
	s_and_saveexec_b64 s[74:75], vcc
	s_cbranch_execz .LBB4_583
; %bb.580:                              ;   in Loop: Header=BB4_566 Depth=3
	v_mad_u64_u32 v[52:53], s[22:23], v24, 24, v[59:60]
                                        ; implicit-def: $vgpr48_vgpr49
	flat_load_dword v4, v[52:53]
	s_waitcnt vmcnt(0) lgkmcnt(0)
	v_cmp_ne_u32_e32 vcc, 1, v4
	v_cmp_eq_u32_e64 s[22:23], 1, v4
	s_and_saveexec_b64 s[76:77], s[22:23]
	s_cbranch_execz .LBB4_582
; %bb.581:                              ;   in Loop: Header=BB4_566 Depth=3
	flat_load_dword v48, v[52:53] offset:4 glc
	s_waitcnt vmcnt(0) lgkmcnt(0)
	v_ashrrev_i32_e32 v49, 31, v48
.LBB4_582:                              ;   in Loop: Header=BB4_566 Depth=3
	s_or_b64 exec, exec, s[76:77]
	s_orn2_b64 s[22:23], vcc, exec
.LBB4_583:                              ;   in Loop: Header=BB4_566 Depth=3
	s_or_b64 exec, exec, s[74:75]
	s_and_saveexec_b64 s[74:75], s[22:23]
; %bb.584:                              ;   in Loop: Header=BB4_566 Depth=3
	v_mad_i64_i32 v[48:49], s[22:23], v24, v12, 0
; %bb.585:                              ;   in Loop: Header=BB4_566 Depth=3
	s_or_b64 exec, exec, s[74:75]
	v_add_co_u32_e32 v4, vcc, v50, v48
	v_addc_co_u32_e32 v5, vcc, v51, v49, vcc
	ds_write_b64 v0, v[4:5] offset:720
	v_and_b32_e32 v4, 0x2000, v13
	v_cmp_ne_u32_e32 vcc, 0, v4
	s_and_saveexec_b64 s[22:23], vcc
	s_cbranch_execz .LBB4_587
; %bb.586:                              ;   in Loop: Header=BB4_566 Depth=3
	ds_read_b64 v[4:5], v0 offset:872
	s_waitcnt lgkmcnt(0)
	v_add_co_u32_e32 v4, vcc, 1, v4
	v_addc_co_u32_e32 v5, vcc, 0, v5, vcc
	ds_write_b64 v0, v[4:5] offset:872
.LBB4_587:                              ;   in Loop: Header=BB4_566 Depth=3
	s_or_b64 exec, exec, s[22:23]
	v_mov_b32_e32 v49, v9
	v_mov_b32_e32 v48, v8
.LBB4_588:                              ;   in Loop: Header=BB4_566 Depth=3
	s_or_b64 exec, exec, s[72:73]
	s_xor_b64 s[22:23], s[62:63], -1
	s_and_b64 s[22:23], exec, s[22:23]
	s_or_b64 s[60:61], s[22:23], s[60:61]
	s_and_saveexec_b64 s[22:23], s[6:7]
	s_cbranch_execz .LBB4_607
; %bb.589:                              ;   in Loop: Header=BB4_566 Depth=3
	s_and_saveexec_b64 s[62:63], s[28:29]
	s_xor_b64 s[62:63], exec, s[62:63]
	s_cbranch_execz .LBB4_604
; %bb.590:                              ;   in Loop: Header=BB4_566 Depth=3
	s_and_saveexec_b64 s[72:73], s[12:13]
	s_cbranch_execz .LBB4_603
; %bb.591:                              ;   in Loop: Header=BB4_566 Depth=3
	s_mov_b64 s[76:77], exec
	v_mbcnt_lo_u32_b32 v4, s76, 0
	v_mbcnt_hi_u32_b32 v4, s77, v4
	v_cmp_eq_u32_e32 vcc, 0, v4
	s_waitcnt vmcnt(0) lgkmcnt(0)
	buffer_wbinvl1_vol
	s_and_saveexec_b64 s[74:75], vcc
	s_cbranch_execz .LBB4_593
; %bb.592:                              ;   in Loop: Header=BB4_566 Depth=3
	s_bcnt1_i32_b64 s76, s[76:77]
	v_mov_b32_e32 v4, s76
	v_mov_b32_e32 v5, v32
	ds_add_u64 v0, v[4:5]
	s_trap 2
.LBB4_593:                              ;   in Loop: Header=BB4_566 Depth=3
	s_or_b64 exec, exec, s[74:75]
	s_trap 2
	ds_read_b64 v[4:5], v0
	s_waitcnt lgkmcnt(0)
	v_add_co_u32_e32 v10, vcc, v10, v14
	v_addc_co_u32_e32 v11, vcc, 0, v11, vcc
	v_cmp_lt_u64_e32 vcc, v[4:5], v[10:11]
	s_and_saveexec_b64 s[74:75], vcc
	s_cbranch_execz .LBB4_602
; %bb.594:                              ;   in Loop: Header=BB4_566 Depth=3
	s_mov_b32 s30, 0
	s_mov_b64 s[76:77], 0
                                        ; implicit-def: $sgpr78_sgpr79
                                        ; implicit-def: $sgpr88_sgpr89
	s_branch .LBB4_596
.LBB4_595:                              ;   in Loop: Header=BB4_596 Depth=4
	s_or_b64 exec, exec, s[92:93]
	s_and_b64 s[90:91], exec, s[94:95]
	s_or_b64 s[76:77], s[90:91], s[76:77]
	s_andn2_b64 s[78:79], s[78:79], exec
	s_and_b64 s[90:91], s[88:89], exec
	s_or_b64 s[78:79], s[78:79], s[90:91]
	s_andn2_b64 exec, exec, s[76:77]
	s_cbranch_execz .LBB4_600
.LBB4_596:                              ;   Parent Loop BB4_53 Depth=1
                                        ;     Parent Loop BB4_89 Depth=2
                                        ;       Parent Loop BB4_566 Depth=3
                                        ; =>      This Inner Loop Header: Depth=4
	s_add_i32 s30, s30, 1
	s_cmpk_lg_i32 s30, 0x2710
	s_cselect_b64 s[90:91], -1, 0
	s_and_b64 vcc, exec, s[90:91]
	s_cbranch_vccz .LBB4_598
; %bb.597:                              ;   in Loop: Header=BB4_596 Depth=4
	s_mov_b64 s[94:95], -1
	s_or_b64 s[88:89], s[88:89], exec
	s_and_saveexec_b64 s[92:93], s[90:91]
	s_cbranch_execz .LBB4_595
	s_branch .LBB4_599
.LBB4_598:                              ;   in Loop: Header=BB4_596 Depth=4
	s_trap 2
	ds_read_b64 v[4:5], v0
	s_andn2_b64 s[90:91], s[90:91], exec
	s_mov_b32 s30, 0
	s_waitcnt lgkmcnt(0)
	flat_load_dword v4, v[4:5] glc
	s_waitcnt vmcnt(0) lgkmcnt(0)
	buffer_wbinvl1_vol
	v_cmp_eq_u32_e32 vcc, 0, v4
	s_and_b64 s[92:93], vcc, exec
	s_or_b64 s[90:91], s[90:91], s[92:93]
	s_mov_b64 s[94:95], -1
	s_or_b64 s[88:89], s[88:89], exec
	s_and_saveexec_b64 s[92:93], s[90:91]
	s_cbranch_execz .LBB4_595
.LBB4_599:                              ;   in Loop: Header=BB4_596 Depth=4
	s_sleep 1
	s_trap 2
	ds_read_b64 v[4:5], v0
	s_waitcnt lgkmcnt(0)
	s_andn2_b64 s[88:89], s[88:89], exec
	v_cmp_ge_u64_e32 vcc, v[4:5], v[10:11]
	s_orn2_b64 s[94:95], vcc, exec
	s_branch .LBB4_595
.LBB4_600:                              ;   in Loop: Header=BB4_566 Depth=3
	s_or_b64 exec, exec, s[76:77]
	s_and_saveexec_b64 s[76:77], s[78:79]
	s_xor_b64 s[76:77], exec, s[76:77]
	s_cbranch_execz .LBB4_602
; %bb.601:                              ;   in Loop: Header=BB4_566 Depth=3
	ds_write_b32 v0, v31
	s_trap 2
.LBB4_602:                              ;   in Loop: Header=BB4_566 Depth=3
	s_or_b64 exec, exec, s[74:75]
	;;#ASMSTART
	s_wakeup
	;;#ASMEND
.LBB4_603:                              ;   in Loop: Header=BB4_566 Depth=3
	s_or_b64 exec, exec, s[72:73]
.LBB4_604:                              ;   in Loop: Header=BB4_566 Depth=3
	s_andn2_saveexec_b64 s[62:63], s[62:63]
	s_cbranch_execz .LBB4_606
; %bb.605:                              ;   in Loop: Header=BB4_566 Depth=3
	s_waitcnt vmcnt(0) lgkmcnt(0)
	buffer_wbinvl1_vol
	s_barrier
.LBB4_606:                              ;   in Loop: Header=BB4_566 Depth=3
	s_or_b64 exec, exec, s[62:63]
.LBB4_607:                              ;   in Loop: Header=BB4_566 Depth=3
	s_or_b64 exec, exec, s[22:23]
	v_sub_u32_e32 v4, v33, v43
	v_min_i32_e32 v42, v42, v4
	s_trap 2
	ds_read_b32 v4, v0
	v_cmp_lt_i32_e32 vcc, 0, v42
	s_waitcnt lgkmcnt(0)
	v_readfirstlane_b32 s22, v4
	s_cmp_eq_u32 s22, 0
	s_cselect_b64 s[22:23], -1, 0
	v_and_b32_e32 v4, 16, v13
	s_and_b64 s[22:23], vcc, s[22:23]
	v_cmp_ne_u32_e32 vcc, 0, v4
	s_and_b64 s[62:63], vcc, s[22:23]
	s_and_saveexec_b64 s[22:23], s[62:63]
	s_cbranch_execz .LBB4_609
; %bb.608:                              ;   in Loop: Header=BB4_566 Depth=3
	s_waitcnt vmcnt(0)
	buffer_wbinvl1_vol
.LBB4_609:                              ;   in Loop: Header=BB4_566 Depth=3
	s_or_b64 exec, exec, s[22:23]
	v_and_b32_e32 v4, 32, v13
	v_cmp_ne_u32_e32 vcc, 0, v4
	s_and_saveexec_b64 s[22:23], vcc
	s_cbranch_execz .LBB4_565
; %bb.610:                              ;   in Loop: Header=BB4_566 Depth=3
	v_add_co_u32_e32 v48, vcc, 2, v48
	v_addc_co_u32_e32 v49, vcc, 0, v49, vcc
	flat_store_dwordx2 v[16:17], v[48:49]
	s_branch .LBB4_565
.LBB4_611:                              ;   in Loop: Header=BB4_53 Depth=1
	s_or_b64 exec, exec, s[46:47]
	buffer_load_dword v8, off, s[0:3], s33 offset:168 ; 4-byte Folded Reload
	buffer_load_dword v52, off, s[0:3], s33 offset:172 ; 4-byte Folded Reload
	;; [unrolled: 1-line block ×3, first 2 shown]
.LBB4_612:                              ;   in Loop: Header=BB4_53 Depth=1
	s_or_b64 exec, exec, s[44:45]
.LBB4_613:                              ;   in Loop: Header=BB4_53 Depth=1
	s_or_b64 exec, exec, s[42:43]
	s_add_i32 s22, s26, 1
	s_add_i32 s49, s49, 1
	s_cmp_eq_u32 s26, s50
	s_cbranch_scc1 .LBB4_615
; %bb.614:                              ;   in Loop: Header=BB4_53 Depth=1
	s_mov_b32 s26, s22
	s_branch .LBB4_53
.LBB4_615:
	v_and_b32_e32 v0, 0x800, v13
	v_cmp_eq_u32_e32 vcc, 0, v0
	s_and_saveexec_b64 s[6:7], vcc
	s_cbranch_execz .LBB4_648
; %bb.616:
	v_and_b32_e32 v0, 48, v13
	v_cmp_ne_u32_e32 vcc, 0, v0
	s_and_saveexec_b64 s[4:5], vcc
	s_cbranch_execz .LBB4_618
; %bb.617:
	buffer_load_dword v0, off, s[0:3], s33 offset:180 ; 4-byte Folded Reload
	s_waitcnt lgkmcnt(0)
	buffer_load_dword v1, off, s[0:3], s33 offset:184 ; 4-byte Folded Reload
	s_waitcnt vmcnt(0)
	flat_store_dwordx2 v[0:1], v[48:49] offset:104
.LBB4_618:
	s_or_b64 exec, exec, s[4:5]
	s_movk_i32 s4, 0x88
	v_and_b32_e32 v0, 0x88, v13
	v_cmp_eq_u32_e32 vcc, s4, v0
	s_and_saveexec_b64 s[10:11], vcc
	s_cbranch_execz .LBB4_628
; %bb.619:
	v_add_u32_e32 v0, 6, v48
	v_and_b32_e32 v0, 7, v0
	s_waitcnt vmcnt(0) lgkmcnt(0)
	v_mad_u64_u32 v[2:3], s[4:5], v0, 24, v[59:60]
	v_and_b32_e32 v4, 64, v13
	v_cmp_eq_u32_e64 s[4:5], 0, v4
	flat_load_dwordx2 v[0:1], v[2:3] offset:8 glc
	s_waitcnt vmcnt(0)
	s_mov_b32 s22, 0
	s_waitcnt lgkmcnt(0)
	v_cmp_ne_u64_e32 vcc, -1, v[0:1]
	s_and_b64 s[4:5], vcc, s[4:5]
	s_and_b64 exec, exec, s[4:5]
	s_cbranch_execz .LBB4_628
; %bb.620:
	s_mov_b64 s[4:5], 0
                                        ; implicit-def: $sgpr12_sgpr13
                                        ; implicit-def: $sgpr14_sgpr15
	s_branch .LBB4_623
.LBB4_621:                              ;   in Loop: Header=BB4_623 Depth=1
	flat_load_dwordx2 v[4:5], v[2:3] offset:8 glc
	s_waitcnt vmcnt(0)
	s_andn2_b64 s[14:15], s[14:15], exec
	s_waitcnt lgkmcnt(0)
	v_cmp_eq_u64_e32 vcc, -1, v[4:5]
	s_orn2_b64 s[18:19], vcc, exec
.LBB4_622:                              ;   in Loop: Header=BB4_623 Depth=1
	s_or_b64 exec, exec, s[20:21]
	s_and_b64 s[16:17], exec, s[18:19]
	s_or_b64 s[4:5], s[16:17], s[4:5]
	s_andn2_b64 s[12:13], s[12:13], exec
	s_and_b64 s[16:17], s[14:15], exec
	s_or_b64 s[12:13], s[12:13], s[16:17]
	s_andn2_b64 exec, exec, s[4:5]
	s_cbranch_execz .LBB4_626
.LBB4_623:                              ; =>This Inner Loop Header: Depth=1
	s_cmpk_lt_i32 s22, 0x270f
	s_cselect_b64 s[16:17], -1, 0
	s_and_b64 vcc, exec, s[16:17]
	s_cbranch_vccnz .LBB4_625
; %bb.624:                              ;   in Loop: Header=BB4_623 Depth=1
	s_trap 2
	ds_read_b64 v[0:1], v0
	s_andn2_b64 s[16:17], s[16:17], exec
	s_mov_b32 s22, 0
	s_waitcnt lgkmcnt(0)
	flat_load_dword v0, v[0:1] glc
	s_waitcnt vmcnt(0) lgkmcnt(0)
	buffer_wbinvl1_vol
	v_cmp_eq_u32_e32 vcc, 0, v0
	s_and_b64 s[18:19], vcc, exec
	s_or_b64 s[16:17], s[16:17], s[18:19]
	s_mov_b64 s[18:19], -1
	s_or_b64 s[14:15], s[14:15], exec
	s_and_saveexec_b64 s[20:21], s[16:17]
	s_cbranch_execz .LBB4_622
	s_branch .LBB4_621
.LBB4_625:                              ;   in Loop: Header=BB4_623 Depth=1
	s_add_i32 s22, s22, 1
                                        ; implicit-def: $vgpr0
	s_mov_b64 s[18:19], -1
	s_or_b64 s[14:15], s[14:15], exec
	s_and_saveexec_b64 s[20:21], s[16:17]
	s_cbranch_execz .LBB4_622
	s_branch .LBB4_621
.LBB4_626:
	s_or_b64 exec, exec, s[4:5]
	s_and_saveexec_b64 s[4:5], s[12:13]
	s_xor_b64 s[4:5], exec, s[4:5]
	s_cbranch_execz .LBB4_628
; %bb.627:
	ds_write_b32 v0, v0
	s_trap 2
.LBB4_628:
	s_or_b64 exec, exec, s[10:11]
	v_and_b32_e32 v0, 0x2000, v13
	v_cmp_ne_u32_e32 vcc, 0, v0
	s_and_saveexec_b64 s[4:5], vcc
	s_cbranch_execz .LBB4_630
; %bb.629:
	s_trap 2
	s_waitcnt lgkmcnt(0)
	ds_read_b64 v[0:1], v0
	buffer_load_dword v2, off, s[0:3], s33 offset:220 ; 4-byte Folded Reload
	buffer_load_dword v3, off, s[0:3], s33 offset:224 ; 4-byte Folded Reload
	s_waitcnt vmcnt(0) lgkmcnt(0)
	flat_store_dwordx2 v[2:3], v[0:1] offset:16
.LBB4_630:
	s_or_b64 exec, exec, s[4:5]
	s_waitcnt vmcnt(0)
	v_cmp_ne_u32_e32 vcc, 64, v8
	s_and_b64 exec, exec, vcc
	s_cbranch_execz .LBB4_648
; %bb.631:
	buffer_load_dword v0, off, s[0:3], s33 offset:192 ; 4-byte Folded Reload
	s_waitcnt vmcnt(0)
	v_cmp_ne_u32_sdwa s[4:5], v8, v0 src0_sel:DWORD src1_sel:WORD_0
	s_and_saveexec_b64 s[10:11], s[4:5]
	s_xor_b64 s[4:5], exec, s[10:11]
	s_cbranch_execz .LBB4_646
; %bb.632:
	buffer_load_dword v0, off, s[0:3], s33 offset:188 ; 4-byte Folded Reload
	s_waitcnt vmcnt(0)
	v_and_b32_e32 v0, 63, v0
	v_cmp_eq_u32_e32 vcc, 0, v0
	s_and_saveexec_b64 s[10:11], vcc
	s_cbranch_execz .LBB4_645
; %bb.633:
	s_mov_b64 s[14:15], exec
	v_mbcnt_lo_u32_b32 v0, s14, 0
	v_mbcnt_hi_u32_b32 v0, s15, v0
	v_cmp_eq_u32_e32 vcc, 0, v0
	s_waitcnt lgkmcnt(0)
	buffer_wbinvl1_vol
	s_and_saveexec_b64 s[12:13], vcc
	s_cbranch_execz .LBB4_635
; %bb.634:
	s_bcnt1_i32_b64 s14, s[14:15]
	v_mov_b32_e32 v0, s14
	v_mov_b32_e32 v1, 0
	ds_add_u64 v0, v[0:1]
	s_trap 2
.LBB4_635:
	s_or_b64 exec, exec, s[12:13]
	v_lshrrev_b32_e32 v0, 6, v8
	s_trap 2
	ds_read_b64 v[2:3], v0
	s_waitcnt lgkmcnt(0)
	v_add_co_u32_e32 v0, vcc, v10, v0
	v_addc_co_u32_e32 v1, vcc, 0, v11, vcc
	v_cmp_lt_u64_e32 vcc, v[2:3], v[0:1]
	s_and_saveexec_b64 s[12:13], vcc
	s_cbranch_execz .LBB4_644
; %bb.636:
	s_mov_b32 s28, 0
	s_mov_b64 s[14:15], 0
                                        ; implicit-def: $sgpr16_sgpr17
                                        ; implicit-def: $sgpr18_sgpr19
	s_branch .LBB4_638
.LBB4_637:                              ;   in Loop: Header=BB4_638 Depth=1
	s_or_b64 exec, exec, s[22:23]
	s_and_b64 s[20:21], exec, s[26:27]
	s_or_b64 s[14:15], s[20:21], s[14:15]
	s_andn2_b64 s[16:17], s[16:17], exec
	s_and_b64 s[20:21], s[18:19], exec
	s_or_b64 s[16:17], s[16:17], s[20:21]
	s_andn2_b64 exec, exec, s[14:15]
	s_cbranch_execz .LBB4_642
.LBB4_638:                              ; =>This Inner Loop Header: Depth=1
	s_add_i32 s28, s28, 1
	s_cmpk_lg_i32 s28, 0x2710
	s_cselect_b64 s[20:21], -1, 0
	s_and_b64 vcc, exec, s[20:21]
	s_cbranch_vccz .LBB4_640
; %bb.639:                              ;   in Loop: Header=BB4_638 Depth=1
	s_mov_b64 s[26:27], -1
	s_or_b64 s[18:19], s[18:19], exec
	s_and_saveexec_b64 s[22:23], s[20:21]
	s_cbranch_execz .LBB4_637
	s_branch .LBB4_641
.LBB4_640:                              ;   in Loop: Header=BB4_638 Depth=1
	s_trap 2
	ds_read_b64 v[2:3], v0
	s_andn2_b64 s[20:21], s[20:21], exec
	s_mov_b32 s28, 0
	s_waitcnt lgkmcnt(0)
	flat_load_dword v2, v[2:3] glc
	s_waitcnt vmcnt(0) lgkmcnt(0)
	buffer_wbinvl1_vol
	v_cmp_eq_u32_e32 vcc, 0, v2
	s_and_b64 s[22:23], vcc, exec
	s_or_b64 s[20:21], s[20:21], s[22:23]
	s_mov_b64 s[26:27], -1
	s_or_b64 s[18:19], s[18:19], exec
	s_and_saveexec_b64 s[22:23], s[20:21]
	s_cbranch_execz .LBB4_637
.LBB4_641:                              ;   in Loop: Header=BB4_638 Depth=1
	s_sleep 1
	s_trap 2
	ds_read_b64 v[2:3], v0
	s_waitcnt lgkmcnt(0)
	s_andn2_b64 s[18:19], s[18:19], exec
	v_cmp_ge_u64_e32 vcc, v[2:3], v[0:1]
	s_orn2_b64 s[26:27], vcc, exec
	s_branch .LBB4_637
.LBB4_642:
	s_or_b64 exec, exec, s[14:15]
	s_and_saveexec_b64 s[14:15], s[16:17]
	s_xor_b64 s[14:15], exec, s[14:15]
	s_cbranch_execz .LBB4_644
; %bb.643:
	v_mov_b32_e32 v0, 1
	ds_write_b32 v0, v0
	s_trap 2
.LBB4_644:
	s_or_b64 exec, exec, s[12:13]
	;;#ASMSTART
	s_wakeup
	;;#ASMEND
.LBB4_645:
	s_or_b64 exec, exec, s[10:11]
.LBB4_646:
	s_andn2_saveexec_b64 s[4:5], s[4:5]
	s_cbranch_execz .LBB4_648
; %bb.647:
	s_waitcnt lgkmcnt(0)
	buffer_wbinvl1_vol
	s_barrier
.LBB4_648:
	s_or_b64 exec, exec, s[6:7]
.LBB4_649:
	s_andn2_saveexec_b64 s[26:27], s[24:25]
	s_cbranch_execz .LBB4_651
; %bb.650:
	s_getpc_b64 s[4:5]
	s_add_u32 s4, s4, __PRETTY_FUNCTION__._ZN10PrimitivesIa7FuncSumIaE12FanSymmetricILi1EELi0E11ProtoSimpleILi2ELi2ELi0ELi2ELi0ELi0EELi0ELb0ELi0ELi0ELi0EEC2EiiPKiS8_PKvPvmhhhP15ncclDevWorkCollP14ncclDevWorkP2pii@rel32@lo+4
	s_addc_u32 s5, s5, __PRETTY_FUNCTION__._ZN10PrimitivesIa7FuncSumIaE12FanSymmetricILi1EELi0E11ProtoSimpleILi2ELi2ELi0ELi2ELi0ELi0EELi0ELb0ELi0ELi0ELi0EEC2EiiPKiS8_PKvPvmhhhP15ncclDevWorkCollP14ncclDevWorkP2pii@rel32@hi+12
	s_getpc_b64 s[6:7]
	s_add_u32 s6, s6, __assert_fail@rel32@lo+4
	s_addc_u32 s7, s7, __assert_fail@rel32@hi+12
	v_mov_b32_e32 v0, s4
	s_waitcnt lgkmcnt(0)
	v_mov_b32_e32 v1, s5
	s_swappc_b64 s[30:31], s[6:7]
	; divergent unreachable
.LBB4_651:
	s_or_b64 exec, exec, s[26:27]
	buffer_load_dword v62, off, s[0:3], s33 ; 4-byte Folded Reload
	buffer_load_dword v61, off, s[0:3], s33 offset:4 ; 4-byte Folded Reload
	buffer_load_dword v60, off, s[0:3], s33 offset:8 ; 4-byte Folded Reload
	;; [unrolled: 1-line block ×14, first 2 shown]
	v_readlane_b32 s30, v63, 16
	v_readlane_b32 s31, v63, 17
	;; [unrolled: 1-line block ×18, first 2 shown]
	s_mov_b32 s32, s33
	v_readlane_b32 s4, v63, 18
	s_or_saveexec_b64 s[6:7], -1
	buffer_load_dword v63, off, s[0:3], s33 offset:228 ; 4-byte Folded Reload
	s_mov_b64 exec, s[6:7]
	s_mov_b32 s33, s4
	s_waitcnt vmcnt(0) lgkmcnt(0)
	s_setpc_b64 s[30:31]
.Lfunc_end4:
	.size	_ZN12_GLOBAL__N_17runRingIa7FuncSumIaE11ProtoSimpleILi2ELi2ELi0ELi2ELi0ELi0EELi0ELi2ELi0EEEviiP15ncclDevWorkColl, .Lfunc_end4-_ZN12_GLOBAL__N_17runRingIa7FuncSumIaE11ProtoSimpleILi2ELi2ELi0ELi2ELi0ELi0EELi0ELi2ELi0EEEviiP15ncclDevWorkColl
                                        ; -- End function
	.set .L_ZN12_GLOBAL__N_17runRingIa7FuncSumIaE11ProtoSimpleILi2ELi2ELi0ELi2ELi0ELi0EELi0ELi2ELi0EEEviiP15ncclDevWorkColl.num_vgpr, max(64, .L__assert_fail.num_vgpr)
	.set .L_ZN12_GLOBAL__N_17runRingIa7FuncSumIaE11ProtoSimpleILi2ELi2ELi0ELi2ELi0ELi0EELi0ELi2ELi0EEEviiP15ncclDevWorkColl.num_agpr, max(0, .L__assert_fail.num_agpr)
	.set .L_ZN12_GLOBAL__N_17runRingIa7FuncSumIaE11ProtoSimpleILi2ELi2ELi0ELi2ELi0ELi0EELi0ELi2ELi0EEEviiP15ncclDevWorkColl.numbered_sgpr, max(96, .L__assert_fail.numbered_sgpr)
	.set .L_ZN12_GLOBAL__N_17runRingIa7FuncSumIaE11ProtoSimpleILi2ELi2ELi0ELi2ELi0ELi0EELi0ELi2ELi0EEEviiP15ncclDevWorkColl.num_named_barrier, max(0, .L__assert_fail.num_named_barrier)
	.set .L_ZN12_GLOBAL__N_17runRingIa7FuncSumIaE11ProtoSimpleILi2ELi2ELi0ELi2ELi0ELi0EELi0ELi2ELi0EEEviiP15ncclDevWorkColl.private_seg_size, 240+max(.L__assert_fail.private_seg_size)
	.set .L_ZN12_GLOBAL__N_17runRingIa7FuncSumIaE11ProtoSimpleILi2ELi2ELi0ELi2ELi0ELi0EELi0ELi2ELi0EEEviiP15ncclDevWorkColl.uses_vcc, or(1, .L__assert_fail.uses_vcc)
	.set .L_ZN12_GLOBAL__N_17runRingIa7FuncSumIaE11ProtoSimpleILi2ELi2ELi0ELi2ELi0ELi0EELi0ELi2ELi0EEEviiP15ncclDevWorkColl.uses_flat_scratch, or(0, .L__assert_fail.uses_flat_scratch)
	.set .L_ZN12_GLOBAL__N_17runRingIa7FuncSumIaE11ProtoSimpleILi2ELi2ELi0ELi2ELi0ELi0EELi0ELi2ELi0EEEviiP15ncclDevWorkColl.has_dyn_sized_stack, or(0, .L__assert_fail.has_dyn_sized_stack)
	.set .L_ZN12_GLOBAL__N_17runRingIa7FuncSumIaE11ProtoSimpleILi2ELi2ELi0ELi2ELi0ELi0EELi0ELi2ELi0EEEviiP15ncclDevWorkColl.has_recursion, or(1, .L__assert_fail.has_recursion)
	.set .L_ZN12_GLOBAL__N_17runRingIa7FuncSumIaE11ProtoSimpleILi2ELi2ELi0ELi2ELi0ELi0EELi0ELi2ELi0EEEviiP15ncclDevWorkColl.has_indirect_call, or(0, .L__assert_fail.has_indirect_call)
	.section	.AMDGPU.csdata,"",@progbits
; Function info:
; codeLenInByte = 22916
; TotalNumSgprs: 100
; NumVgprs: 64
; ScratchSize: 304
; MemoryBound: 0
	.text
	.p2align	2                               ; -- Begin function _Z50ncclDevFunc_AlltoAllPivot_RING_SIMPLE_Sum_i8_0_0_2v
	.type	_Z50ncclDevFunc_AlltoAllPivot_RING_SIMPLE_Sum_i8_0_0_2v,@function
_Z50ncclDevFunc_AlltoAllPivot_RING_SIMPLE_Sum_i8_0_0_2v: ; @_Z50ncclDevFunc_AlltoAllPivot_RING_SIMPLE_Sum_i8_0_0_2v
; %bb.0:
	s_waitcnt vmcnt(0) expcnt(0) lgkmcnt(0)
	s_mov_b32 s4, s33
	s_mov_b32 s33, s32
	s_or_saveexec_b64 s[6:7], -1
	buffer_store_dword v43, off, s[0:3], s33 offset:16 ; 4-byte Folded Spill
	s_mov_b64 exec, s[6:7]
	v_writelane_b32 v43, s4, 24
	s_addk_i32 s32, 0x800
	buffer_store_dword v40, off, s[0:3], s33 offset:12 ; 4-byte Folded Spill
	buffer_store_dword v41, off, s[0:3], s33 offset:8 ; 4-byte Folded Spill
	;; [unrolled: 1-line block ×3, first 2 shown]
	buffer_store_dword v63, off, s[0:3], s33 ; 4-byte Folded Spill
	v_writelane_b32 v43, s34, 0
	v_writelane_b32 v43, s35, 1
	;; [unrolled: 1-line block ×24, first 2 shown]
	s_trap 2
	ds_read_b32 v0, v0
	v_mov_b32_e32 v40, v31
	s_mov_b32 s68, s12
	s_mov_b64 s[66:67], s[8:9]
	s_waitcnt lgkmcnt(0)
	v_cmp_gt_i32_e32 vcc, 1, v0
	s_cbranch_vccnz .LBB5_8
; %bb.1:
	s_mov_b32 s69, 0
	v_and_b32_e32 v41, 0x3ff, v40
	v_mov_b32_e32 v42, 6
	s_branch .LBB5_3
.LBB5_2:                                ;   in Loop: Header=BB5_3 Depth=1
	s_or_b64 exec, exec, s[70:71]
	s_trap 2
	ds_read_b32 v0, v0
	s_add_i32 s69, s69, 1
	s_waitcnt lgkmcnt(0)
	v_cmp_lt_i32_e32 vcc, s69, v0
	s_cbranch_vccz .LBB5_8
.LBB5_3:                                ; =>This Inner Loop Header: Depth=1
	s_trap 2
	ds_read_b32 v0, v0
	s_cmp_eq_u32 s69, 0
	s_cbranch_scc1 .LBB5_6
; %bb.4:                                ;   in Loop: Header=BB5_3 Depth=1
	s_trap 2
	s_waitcnt lgkmcnt(0)
	ds_read_b32 v1, v0
	s_waitcnt lgkmcnt(0)
	v_xor_b32_e32 v1, v1, v0
	v_and_b32_e32 v1, 0xff0000, v1
	v_cmp_eq_u32_e32 vcc, 0, v1
	s_cbranch_vccnz .LBB5_6
; %bb.5:                                ;   in Loop: Header=BB5_3 Depth=1
	s_waitcnt vmcnt(0)
	s_barrier
	ds_read_b32 v0, v0
.LBB5_6:                                ;   in Loop: Header=BB5_3 Depth=1
	s_waitcnt lgkmcnt(0)
	v_lshlrev_b32_sdwa v1, v42, v0 dst_sel:DWORD dst_unused:UNUSED_PAD src0_sel:DWORD src1_sel:BYTE_2
	v_cmp_lt_u32_e32 vcc, v41, v1
	s_and_saveexec_b64 s[70:71], vcc
	s_cbranch_execz .LBB5_2
; %bb.7:                                ;   in Loop: Header=BB5_3 Depth=1
	s_mov_b64 s[4:5], src_shared_base
	s_getpc_b64 s[6:7]
	s_add_u32 s6, s6, _ZN12_GLOBAL__N_17runRingIa7FuncSumIaE11ProtoSimpleILi2ELi2ELi0ELi2ELi0ELi0EELi0ELi2ELi0EEEviiP15ncclDevWorkColl@rel32@lo+4
	s_addc_u32 s7, s7, _ZN12_GLOBAL__N_17runRingIa7FuncSumIaE11ProtoSimpleILi2ELi2ELi0ELi2ELi0ELi0EELi0ELi2ELi0EEEviiP15ncclDevWorkColl@rel32@hi+12
	s_mov_b64 s[8:9], s[66:67]
	s_mov_b32 s12, s68
	v_mov_b32_e32 v31, v40
	v_mov_b32_e32 v0, v41
	;; [unrolled: 1-line block ×3, first 2 shown]
	s_swappc_b64 s[30:31], s[6:7]
	s_branch .LBB5_2
.LBB5_8:
	buffer_load_dword v63, off, s[0:3], s33 ; 4-byte Folded Reload
	buffer_load_dword v42, off, s[0:3], s33 offset:4 ; 4-byte Folded Reload
	buffer_load_dword v41, off, s[0:3], s33 offset:8 ; 4-byte Folded Reload
	;; [unrolled: 1-line block ×3, first 2 shown]
	v_readlane_b32 s30, v43, 22
	v_readlane_b32 s31, v43, 23
	;; [unrolled: 1-line block ×24, first 2 shown]
	s_mov_b32 s32, s33
	v_readlane_b32 s4, v43, 24
	s_or_saveexec_b64 s[6:7], -1
	buffer_load_dword v43, off, s[0:3], s33 offset:16 ; 4-byte Folded Reload
	s_mov_b64 exec, s[6:7]
	s_mov_b32 s33, s4
	s_waitcnt vmcnt(0)
	s_setpc_b64 s[30:31]
.Lfunc_end5:
	.size	_Z50ncclDevFunc_AlltoAllPivot_RING_SIMPLE_Sum_i8_0_0_2v, .Lfunc_end5-_Z50ncclDevFunc_AlltoAllPivot_RING_SIMPLE_Sum_i8_0_0_2v
                                        ; -- End function
	.set .L_Z50ncclDevFunc_AlltoAllPivot_RING_SIMPLE_Sum_i8_0_0_2v.num_vgpr, max(64, .L_ZN12_GLOBAL__N_17runRingIa7FuncSumIaE11ProtoSimpleILi2ELi2ELi0ELi2ELi0ELi0EELi0ELi2ELi0EEEviiP15ncclDevWorkColl.num_vgpr)
	.set .L_Z50ncclDevFunc_AlltoAllPivot_RING_SIMPLE_Sum_i8_0_0_2v.num_agpr, max(0, .L_ZN12_GLOBAL__N_17runRingIa7FuncSumIaE11ProtoSimpleILi2ELi2ELi0ELi2ELi0ELi0EELi0ELi2ELi0EEEviiP15ncclDevWorkColl.num_agpr)
	.set .L_Z50ncclDevFunc_AlltoAllPivot_RING_SIMPLE_Sum_i8_0_0_2v.numbered_sgpr, max(72, .L_ZN12_GLOBAL__N_17runRingIa7FuncSumIaE11ProtoSimpleILi2ELi2ELi0ELi2ELi0ELi0EELi0ELi2ELi0EEEviiP15ncclDevWorkColl.numbered_sgpr)
	.set .L_Z50ncclDevFunc_AlltoAllPivot_RING_SIMPLE_Sum_i8_0_0_2v.num_named_barrier, max(0, .L_ZN12_GLOBAL__N_17runRingIa7FuncSumIaE11ProtoSimpleILi2ELi2ELi0ELi2ELi0ELi0EELi0ELi2ELi0EEEviiP15ncclDevWorkColl.num_named_barrier)
	.set .L_Z50ncclDevFunc_AlltoAllPivot_RING_SIMPLE_Sum_i8_0_0_2v.private_seg_size, 32+max(.L_ZN12_GLOBAL__N_17runRingIa7FuncSumIaE11ProtoSimpleILi2ELi2ELi0ELi2ELi0ELi0EELi0ELi2ELi0EEEviiP15ncclDevWorkColl.private_seg_size)
	.set .L_Z50ncclDevFunc_AlltoAllPivot_RING_SIMPLE_Sum_i8_0_0_2v.uses_vcc, or(1, .L_ZN12_GLOBAL__N_17runRingIa7FuncSumIaE11ProtoSimpleILi2ELi2ELi0ELi2ELi0ELi0EELi0ELi2ELi0EEEviiP15ncclDevWorkColl.uses_vcc)
	.set .L_Z50ncclDevFunc_AlltoAllPivot_RING_SIMPLE_Sum_i8_0_0_2v.uses_flat_scratch, or(0, .L_ZN12_GLOBAL__N_17runRingIa7FuncSumIaE11ProtoSimpleILi2ELi2ELi0ELi2ELi0ELi0EELi0ELi2ELi0EEEviiP15ncclDevWorkColl.uses_flat_scratch)
	.set .L_Z50ncclDevFunc_AlltoAllPivot_RING_SIMPLE_Sum_i8_0_0_2v.has_dyn_sized_stack, or(0, .L_ZN12_GLOBAL__N_17runRingIa7FuncSumIaE11ProtoSimpleILi2ELi2ELi0ELi2ELi0ELi0EELi0ELi2ELi0EEEviiP15ncclDevWorkColl.has_dyn_sized_stack)
	.set .L_Z50ncclDevFunc_AlltoAllPivot_RING_SIMPLE_Sum_i8_0_0_2v.has_recursion, or(1, .L_ZN12_GLOBAL__N_17runRingIa7FuncSumIaE11ProtoSimpleILi2ELi2ELi0ELi2ELi0ELi0EELi0ELi2ELi0EEEviiP15ncclDevWorkColl.has_recursion)
	.set .L_Z50ncclDevFunc_AlltoAllPivot_RING_SIMPLE_Sum_i8_0_0_2v.has_indirect_call, or(0, .L_ZN12_GLOBAL__N_17runRingIa7FuncSumIaE11ProtoSimpleILi2ELi2ELi0ELi2ELi0ELi0EELi0ELi2ELi0EEEviiP15ncclDevWorkColl.has_indirect_call)
	.section	.AMDGPU.csdata,"",@progbits
; Function info:
; codeLenInByte = 768
; TotalNumSgprs: 100
; NumVgprs: 64
; ScratchSize: 336
; MemoryBound: 0
	.text
	.p2align	2                               ; -- Begin function _ZN12_GLOBAL__N_17runRingIa7FuncSumIaE11ProtoSimpleILi2ELi2ELi0ELi4ELi0ELi0EELi0ELi4ELi0EEEviiP15ncclDevWorkColl
	.type	_ZN12_GLOBAL__N_17runRingIa7FuncSumIaE11ProtoSimpleILi2ELi2ELi0ELi4ELi0ELi0EELi0ELi4ELi0EEEviiP15ncclDevWorkColl,@function
_ZN12_GLOBAL__N_17runRingIa7FuncSumIaE11ProtoSimpleILi2ELi2ELi0ELi4ELi0ELi0EELi0ELi4ELi0EEEviiP15ncclDevWorkColl: ; @_ZN12_GLOBAL__N_17runRingIa7FuncSumIaE11ProtoSimpleILi2ELi2ELi0ELi4ELi0ELi0EELi0ELi4ELi0EEEviiP15ncclDevWorkColl
; %bb.0:
	s_waitcnt vmcnt(0) expcnt(0) lgkmcnt(0)
	s_mov_b32 s4, s33
	s_mov_b32 s33, s32
	s_or_saveexec_b64 s[6:7], -1
	buffer_store_dword v63, off, s[0:3], s33 offset:308 ; 4-byte Folded Spill
	s_mov_b64 exec, s[6:7]
	v_writelane_b32 v63, s4, 19
	s_addk_i32 s32, 0x5000
	buffer_store_dword v40, off, s[0:3], s33 offset:56 ; 4-byte Folded Spill
	buffer_store_dword v41, off, s[0:3], s33 offset:52 ; 4-byte Folded Spill
	;; [unrolled: 1-line block ×14, first 2 shown]
	buffer_store_dword v62, off, s[0:3], s33 ; 4-byte Folded Spill
	v_writelane_b32 v63, s34, 0
	v_writelane_b32 v63, s35, 1
	;; [unrolled: 1-line block ×19, first 2 shown]
	v_mov_b32_e32 v49, v3
	v_mov_b32_e32 v48, v2
	buffer_store_dword v31, off, s[0:3], s33 offset:284 ; 4-byte Folded Spill
	buffer_store_dword v0, off, s[0:3], s33 offset:60 ; 4-byte Folded Spill
	s_trap 2
	flat_load_dword v0, v[48:49]
	flat_load_dwordx4 v[4:7], v[48:49] offset:72
	flat_load_dwordx2 v[8:9], v[48:49] offset:88
	v_mov_b32_e32 v61, v1
                                        ; implicit-def: $vgpr28_vgpr29
	s_waitcnt vmcnt(0) lgkmcnt(0)
	ds_read_b32 v1, v0
	v_and_b32_e32 v12, 0xff, v0
	v_bfe_u32 v13, v0, 8, 8
	s_waitcnt lgkmcnt(0)
	v_readfirstlane_b32 s48, v1
	v_cmp_ne_u32_e32 vcc, v1, v12
	s_and_saveexec_b64 s[4:5], vcc
	s_xor_b64 s[4:5], exec, s[4:5]
	s_cbranch_execz .LBB6_6
; %bb.1:
	flat_load_dwordx2 v[10:11], v[48:49] offset:96
	v_cmp_ne_u32_e32 vcc, v1, v13
                                        ; implicit-def: $vgpr28_vgpr29
	s_and_saveexec_b64 s[6:7], vcc
	s_xor_b64 s[6:7], exec, s[6:7]
	s_cbranch_execz .LBB6_3
; %bb.2:
	s_waitcnt vmcnt(0) lgkmcnt(0)
	v_lshrrev_b64 v[28:29], 12, v[10:11]
                                        ; implicit-def: $vgpr10_vgpr11
.LBB6_3:
	s_andn2_saveexec_b64 s[6:7], s[6:7]
	s_cbranch_execz .LBB6_5
; %bb.4:
	s_waitcnt vmcnt(0) lgkmcnt(0)
	v_lshrrev_b32_e32 v28, 1, v11
.LBB6_5:
	s_or_b64 exec, exec, s[6:7]
.LBB6_6:
	s_andn2_saveexec_b64 s[4:5], s[4:5]
	s_cbranch_execz .LBB6_8
; %bb.7:
	flat_load_dwordx2 v[2:3], v[48:49] offset:96
	s_waitcnt vmcnt(0) lgkmcnt(0)
	v_lshlrev_b64 v[28:29], 9, v[2:3]
.LBB6_8:
	s_or_b64 exec, exec, s[4:5]
	flat_load_ushort v0, v[48:49] offset:8
	v_xad_u32 v2, v12, -1, v13
	s_waitcnt vmcnt(0) lgkmcnt(0)
	v_ashrrev_i32_e32 v10, 31, v2
	v_mul_lo_u32 v7, v7, v2
	v_mad_u64_u32 v[2:3], s[4:5], v6, v2, v[4:5]
	v_mul_lo_u32 v4, v6, v10
	s_mov_b32 s4, 0
	v_add_co_u32_e32 v37, vcc, v2, v8
	v_add3_u32 v3, v7, v3, v4
	v_addc_co_u32_e32 v50, vcc, v3, v9, vcc
	v_sub_co_u32_e32 v4, vcc, 0, v37
	v_subb_co_u32_e32 v2, vcc, 0, v50, vcc
	v_and_b32_e32 v2, v50, v2
	v_cvt_f64_u32_e32 v[2:3], v2
	v_and_b32_e32 v4, v37, v4
	v_cvt_f64_u32_e32 v[4:5], v4
	s_mov_b32 s5, 0x40700000
	v_ldexp_f64 v[2:3], v[2:3], 32
	v_sub_u32_e32 v7, v1, v12
	v_sub_u32_e32 v1, 0, v7
	v_max_i32_e32 v1, v7, v1
                                        ; implicit-def: $vgpr24_vgpr25
	v_add_f64 v[4:5], v[2:3], v[4:5]
	v_min_f64 v[4:5], v[4:5], s[4:5]
	v_lshrrev_b32_e32 v3, 1, v0
	v_lshlrev_b32_e32 v6, 1, v3
	v_sub_u32_e32 v0, 0, v6
	v_max_i32_e32 v8, v6, v0
	v_cvt_f32_u32_e32 v0, v8
	v_rcp_iflag_f32_e32 v0, v0
	v_mul_f32_e32 v0, 0x4f7ffffe, v0
	v_cvt_u32_f32_e32 v2, v0
	v_sub_u32_e32 v0, 0, v8
	v_mul_lo_u32 v9, v0, v2
	v_cvt_i32_f64_e32 v0, v[4:5]
	v_mov_b32_e32 v4, 0
	v_mul_hi_u32 v9, v2, v9
	v_ashrrev_i32_e32 v18, 31, v0
	v_or_b32_e32 v5, v50, v18
	v_cmp_ne_u64_e32 vcc, 0, v[4:5]
	v_add_u32_e32 v4, v2, v9
	s_and_saveexec_b64 s[4:5], vcc
	s_xor_b64 s[6:7], exec, s[4:5]
	s_cbranch_execz .LBB6_10
; %bb.9:
	v_cvt_f32_u32_e32 v2, v0
	v_cvt_f32_u32_e32 v5, v18
	v_sub_co_u32_e32 v16, vcc, 0, v0
	v_subb_co_u32_e32 v17, vcc, 0, v18, vcc
	v_madmk_f32 v2, v5, 0x4f800000, v2
	v_rcp_f32_e32 v2, v2
	v_mul_f32_e32 v2, 0x5f7ffffc, v2
	v_mul_f32_e32 v5, 0x2f800000, v2
	v_trunc_f32_e32 v5, v5
	v_madmk_f32 v2, v5, 0xcf800000, v2
	v_cvt_u32_f32_e32 v5, v5
	v_cvt_u32_f32_e32 v2, v2
	v_mul_lo_u32 v11, v16, v5
	v_mul_lo_u32 v14, v17, v2
	v_mad_u64_u32 v[9:10], s[4:5], v16, v2, 0
	v_add3_u32 v14, v10, v11, v14
	v_mul_hi_u32 v15, v2, v9
	v_mad_u64_u32 v[10:11], s[4:5], v2, v14, 0
	v_add_co_u32_e32 v19, vcc, v15, v10
	v_mad_u64_u32 v[9:10], s[4:5], v5, v9, 0
	v_mad_u64_u32 v[14:15], s[4:5], v5, v14, 0
	v_addc_co_u32_e32 v11, vcc, 0, v11, vcc
	v_add_co_u32_e32 v9, vcc, v19, v9
	v_addc_co_u32_e32 v9, vcc, v11, v10, vcc
	v_addc_co_u32_e32 v10, vcc, 0, v15, vcc
	v_add_co_u32_e32 v9, vcc, v9, v14
	v_addc_co_u32_e32 v10, vcc, 0, v10, vcc
	v_add_co_u32_e32 v2, vcc, v2, v9
	v_addc_co_u32_e32 v5, vcc, v5, v10, vcc
	v_mul_lo_u32 v11, v16, v5
	v_mul_lo_u32 v14, v17, v2
	v_mad_u64_u32 v[9:10], s[4:5], v16, v2, 0
	v_add3_u32 v14, v10, v11, v14
	v_mad_u64_u32 v[10:11], s[4:5], v5, v14, 0
	v_mad_u64_u32 v[14:15], s[4:5], v2, v14, 0
	v_mul_hi_u32 v19, v2, v9
	v_mad_u64_u32 v[16:17], s[4:5], v5, v9, 0
	v_add_co_u32_e32 v9, vcc, v19, v14
	v_addc_co_u32_e32 v14, vcc, 0, v15, vcc
	v_add_co_u32_e32 v9, vcc, v9, v16
	v_addc_co_u32_e32 v9, vcc, v14, v17, vcc
	v_addc_co_u32_e32 v11, vcc, 0, v11, vcc
	v_add_co_u32_e32 v9, vcc, v9, v10
	v_addc_co_u32_e32 v10, vcc, 0, v11, vcc
	v_add_co_u32_e32 v2, vcc, v2, v9
	v_addc_co_u32_e32 v5, vcc, v5, v10, vcc
	v_mad_u64_u32 v[9:10], s[4:5], v37, v5, 0
	v_mul_hi_u32 v11, v37, v2
	v_mad_u64_u32 v[14:15], s[4:5], v50, v5, 0
	v_add_co_u32_e32 v11, vcc, v11, v9
	v_addc_co_u32_e32 v16, vcc, 0, v10, vcc
	v_mad_u64_u32 v[9:10], s[4:5], v50, v2, 0
	v_add_co_u32_e32 v2, vcc, v11, v9
	v_addc_co_u32_e32 v2, vcc, v16, v10, vcc
	v_addc_co_u32_e32 v5, vcc, 0, v15, vcc
	v_add_co_u32_e32 v2, vcc, v2, v14
	v_addc_co_u32_e32 v5, vcc, 0, v5, vcc
	v_mul_lo_u32 v11, v18, v2
	v_mul_lo_u32 v14, v0, v5
	v_mad_u64_u32 v[9:10], s[4:5], v0, v2, 0
	v_add3_u32 v10, v10, v14, v11
	v_sub_u32_e32 v11, v50, v10
	v_sub_co_u32_e32 v9, vcc, v37, v9
	v_subb_co_u32_e64 v11, s[4:5], v11, v18, vcc
	v_sub_co_u32_e64 v14, s[4:5], v9, v0
	v_subbrev_co_u32_e64 v11, s[4:5], 0, v11, s[4:5]
	v_cmp_ge_u32_e64 s[4:5], v11, v18
	v_cndmask_b32_e64 v15, 0, -1, s[4:5]
	v_cmp_ge_u32_e64 s[4:5], v14, v0
	v_cndmask_b32_e64 v14, 0, -1, s[4:5]
	v_cmp_eq_u32_e64 s[4:5], v11, v18
	v_cndmask_b32_e64 v11, v15, v14, s[4:5]
	v_add_co_u32_e64 v14, s[4:5], 2, v2
	v_addc_co_u32_e64 v15, s[4:5], 0, v5, s[4:5]
	v_add_co_u32_e64 v16, s[4:5], 1, v2
	v_addc_co_u32_e64 v17, s[4:5], 0, v5, s[4:5]
	v_subb_co_u32_e32 v10, vcc, v50, v10, vcc
	v_cmp_ne_u32_e64 s[4:5], 0, v11
	v_cmp_ge_u32_e32 vcc, v10, v18
	v_cndmask_b32_e64 v11, v17, v15, s[4:5]
	v_cndmask_b32_e64 v15, 0, -1, vcc
	v_cmp_ge_u32_e32 vcc, v9, v0
	v_cndmask_b32_e64 v9, 0, -1, vcc
	v_cmp_eq_u32_e32 vcc, v10, v18
	v_cndmask_b32_e32 v9, v15, v9, vcc
	v_cmp_ne_u32_e32 vcc, 0, v9
	v_cndmask_b32_e32 v25, v5, v11, vcc
	v_cndmask_b32_e64 v5, v16, v14, s[4:5]
	v_cndmask_b32_e32 v24, v2, v5, vcc
.LBB6_10:
	s_or_saveexec_b64 s[4:5], s[6:7]
	v_mad_u64_u32 v[4:5], s[6:7], v1, v4, 0
	s_xor_b64 exec, exec, s[4:5]
	s_cbranch_execz .LBB6_12
; %bb.11:
	v_cvt_f32_u32_e32 v2, v0
	v_sub_u32_e32 v4, 0, v0
	v_mov_b32_e32 v25, 0
	v_rcp_iflag_f32_e32 v2, v2
	v_mul_f32_e32 v2, 0x4f7ffffe, v2
	v_cvt_u32_f32_e32 v2, v2
	v_mul_lo_u32 v4, v4, v2
	v_mul_hi_u32 v4, v2, v4
	v_add_u32_e32 v2, v2, v4
	v_mul_hi_u32 v2, v37, v2
	v_mul_lo_u32 v4, v2, v0
	v_add_u32_e32 v9, 1, v2
	v_sub_u32_e32 v4, v37, v4
	v_sub_u32_e32 v10, v4, v0
	v_cmp_ge_u32_e32 vcc, v4, v0
	v_cndmask_b32_e32 v4, v4, v10, vcc
	v_cndmask_b32_e32 v2, v2, v9, vcc
	v_add_u32_e32 v9, 1, v2
	v_cmp_ge_u32_e32 vcc, v4, v0
	v_cndmask_b32_e32 v24, v2, v9, vcc
.LBB6_12:
	s_or_b64 exec, exec, s[4:5]
	v_sub_u32_e32 v2, v13, v12
	v_add_u16_e32 v2, 1, v2
	v_lshrrev_b16_e32 v4, 15, v2
	v_add_u16_e32 v2, v2, v4
	v_ashrrev_i16_e32 v2, 1, v2
	v_bfe_i32 v2, v2, 0, 16
	v_ashrrev_i32_e32 v4, 31, v2
	v_or_b32_e32 v10, v25, v4
	v_mov_b32_e32 v9, 0
	v_cmp_ne_u64_e32 vcc, 0, v[9:10]
                                        ; implicit-def: $vgpr33_vgpr34
	s_and_saveexec_b64 s[4:5], vcc
	s_xor_b64 s[6:7], exec, s[4:5]
	s_cbranch_execz .LBB6_14
; %bb.13:
	v_ashrrev_i32_e32 v16, 31, v4
	v_add_co_u32_e32 v9, vcc, v2, v16
	v_addc_co_u32_e32 v4, vcc, v4, v16, vcc
	v_xor_b32_e32 v4, v4, v16
	v_xor_b32_e32 v17, v9, v16
	v_cvt_f32_u32_e32 v9, v17
	v_cvt_f32_u32_e32 v10, v4
	v_sub_co_u32_e32 v14, vcc, 0, v17
	v_subb_co_u32_e32 v15, vcc, 0, v4, vcc
	v_madmk_f32 v9, v10, 0x4f800000, v9
	v_rcp_f32_e32 v9, v9
	v_mul_f32_e32 v9, 0x5f7ffffc, v9
	v_mul_f32_e32 v10, 0x2f800000, v9
	v_trunc_f32_e32 v10, v10
	v_madmk_f32 v9, v10, 0xcf800000, v9
	v_cvt_u32_f32_e32 v13, v9
	v_cvt_u32_f32_e32 v19, v10
	v_mul_lo_u32 v11, v15, v13
	v_mad_u64_u32 v[9:10], s[4:5], v14, v13, 0
	v_mul_lo_u32 v12, v14, v19
	v_mul_hi_u32 v20, v13, v9
	v_add3_u32 v12, v10, v12, v11
	v_mad_u64_u32 v[10:11], s[4:5], v13, v12, 0
	v_add_co_u32_e32 v20, vcc, v20, v10
	v_mad_u64_u32 v[9:10], s[4:5], v19, v9, 0
	v_addc_co_u32_e32 v21, vcc, 0, v11, vcc
	v_mad_u64_u32 v[11:12], s[4:5], v19, v12, 0
	v_add_co_u32_e32 v9, vcc, v20, v9
	v_addc_co_u32_e32 v9, vcc, v21, v10, vcc
	v_addc_co_u32_e32 v10, vcc, 0, v12, vcc
	v_add_co_u32_e32 v9, vcc, v9, v11
	v_addc_co_u32_e32 v10, vcc, 0, v10, vcc
	v_add_co_u32_e32 v20, vcc, v13, v9
	v_addc_co_u32_e32 v19, vcc, v19, v10, vcc
	v_mul_lo_u32 v11, v14, v19
	v_mul_lo_u32 v12, v15, v20
	v_mad_u64_u32 v[9:10], s[4:5], v14, v20, 0
	v_add3_u32 v12, v10, v11, v12
	v_mad_u64_u32 v[10:11], s[4:5], v19, v12, 0
	v_mad_u64_u32 v[12:13], s[4:5], v20, v12, 0
	v_mul_hi_u32 v21, v20, v9
	v_mad_u64_u32 v[14:15], s[4:5], v19, v9, 0
	v_add_co_u32_e32 v9, vcc, v21, v12
	v_addc_co_u32_e32 v12, vcc, 0, v13, vcc
	v_add_co_u32_e32 v9, vcc, v9, v14
	v_addc_co_u32_e32 v9, vcc, v12, v15, vcc
	v_addc_co_u32_e32 v11, vcc, 0, v11, vcc
	v_add_co_u32_e32 v9, vcc, v9, v10
	v_addc_co_u32_e32 v10, vcc, 0, v11, vcc
	v_add_co_u32_e32 v11, vcc, v20, v9
	v_addc_co_u32_e32 v12, vcc, v19, v10, vcc
	v_ashrrev_i32_e32 v13, 31, v25
	v_add_co_u32_e32 v9, vcc, v24, v13
	v_xor_b32_e32 v15, v9, v13
	v_mad_u64_u32 v[9:10], s[4:5], v15, v12, 0
	v_mul_hi_u32 v19, v15, v11
	v_addc_co_u32_e32 v14, vcc, v25, v13, vcc
	v_xor_b32_e32 v14, v14, v13
	v_add_co_u32_e32 v19, vcc, v19, v9
	v_addc_co_u32_e32 v20, vcc, 0, v10, vcc
	v_mad_u64_u32 v[9:10], s[4:5], v14, v11, 0
	v_mad_u64_u32 v[11:12], s[4:5], v14, v12, 0
	v_add_co_u32_e32 v9, vcc, v19, v9
	v_addc_co_u32_e32 v9, vcc, v20, v10, vcc
	v_addc_co_u32_e32 v10, vcc, 0, v12, vcc
	v_add_co_u32_e32 v11, vcc, v9, v11
	v_addc_co_u32_e32 v12, vcc, 0, v10, vcc
	v_mul_lo_u32 v19, v4, v11
	v_mul_lo_u32 v20, v17, v12
	v_mad_u64_u32 v[9:10], s[4:5], v17, v11, 0
	v_add3_u32 v10, v10, v20, v19
	v_sub_u32_e32 v19, v14, v10
	v_sub_co_u32_e32 v9, vcc, v15, v9
	v_subb_co_u32_e64 v15, s[4:5], v19, v4, vcc
	v_sub_co_u32_e64 v19, s[4:5], v9, v17
	v_subbrev_co_u32_e64 v15, s[4:5], 0, v15, s[4:5]
	v_cmp_ge_u32_e64 s[4:5], v15, v4
	v_cndmask_b32_e64 v20, 0, -1, s[4:5]
	v_cmp_ge_u32_e64 s[4:5], v19, v17
	v_cndmask_b32_e64 v19, 0, -1, s[4:5]
	v_cmp_eq_u32_e64 s[4:5], v15, v4
	v_cndmask_b32_e64 v15, v20, v19, s[4:5]
	v_add_co_u32_e64 v19, s[4:5], 2, v11
	v_subb_co_u32_e32 v10, vcc, v14, v10, vcc
	v_addc_co_u32_e64 v20, s[4:5], 0, v12, s[4:5]
	v_cmp_ge_u32_e32 vcc, v10, v4
	v_add_co_u32_e64 v21, s[4:5], 1, v11
	v_cndmask_b32_e64 v14, 0, -1, vcc
	v_cmp_ge_u32_e32 vcc, v9, v17
	v_addc_co_u32_e64 v22, s[4:5], 0, v12, s[4:5]
	v_cndmask_b32_e64 v9, 0, -1, vcc
	v_cmp_eq_u32_e32 vcc, v10, v4
	v_cmp_ne_u32_e64 s[4:5], 0, v15
	v_cndmask_b32_e32 v4, v14, v9, vcc
	v_cmp_ne_u32_e32 vcc, 0, v4
	v_cndmask_b32_e64 v9, v21, v19, s[4:5]
	v_cndmask_b32_e64 v15, v22, v20, s[4:5]
	v_cndmask_b32_e32 v9, v11, v9, vcc
	v_xor_b32_e32 v10, v13, v16
	v_cndmask_b32_e32 v4, v12, v15, vcc
	v_xor_b32_e32 v9, v9, v10
	v_xor_b32_e32 v4, v4, v10
	v_sub_co_u32_e32 v33, vcc, v9, v10
	v_subb_co_u32_e32 v34, vcc, v4, v10, vcc
.LBB6_14:
	s_andn2_saveexec_b64 s[4:5], s[6:7]
	s_cbranch_execz .LBB6_16
; %bb.15:
	v_cvt_f32_u32_e32 v4, v2
	v_sub_u32_e32 v9, 0, v2
	v_mov_b32_e32 v34, 0
	v_rcp_iflag_f32_e32 v4, v4
	v_mul_f32_e32 v4, 0x4f7ffffe, v4
	v_cvt_u32_f32_e32 v4, v4
	v_mul_lo_u32 v9, v9, v4
	v_mul_hi_u32 v9, v4, v9
	v_add_u32_e32 v4, v4, v9
	v_mul_hi_u32 v4, v24, v4
	v_mul_lo_u32 v9, v4, v2
	v_add_u32_e32 v10, 1, v4
	v_sub_u32_e32 v9, v24, v9
	v_sub_u32_e32 v11, v9, v2
	v_cmp_ge_u32_e32 vcc, v9, v2
	v_cndmask_b32_e32 v9, v9, v11, vcc
	v_cndmask_b32_e32 v4, v4, v10, vcc
	v_add_u32_e32 v10, 1, v4
	v_cmp_ge_u32_e32 vcc, v9, v2
	v_cndmask_b32_e32 v33, v4, v10, vcc
.LBB6_16:
	s_or_b64 exec, exec, s[4:5]
	v_mul_lo_u32 v4, v5, v8
	s_trap 2
	ds_read_b64 v[9:10], v0
	v_sub_u32_e32 v4, v1, v4
	v_sub_u32_e32 v11, v4, v8
	v_cmp_ge_u32_e64 s[4:5], v4, v8
	s_waitcnt lgkmcnt(0)
	v_cmp_ne_u32_e32 vcc, -1, v9
	v_cndmask_b32_e64 v4, v4, v11, s[4:5]
	v_cndmask_b32_e64 v27, 0, 1, vcc
	v_cmp_ne_u32_e32 vcc, -1, v10
	v_cmp_ge_u32_e64 s[6:7], v4, v8
	v_addc_co_u32_e64 v4, s[10:11], 0, v27, vcc
	v_lshlrev_b32_e32 v8, 1, v4
	v_cmp_le_u32_e64 s[10:11], v8, v61
	s_and_saveexec_b64 s[14:15], s[10:11]
	s_xor_b64 s[24:25], exec, s[14:15]
	s_cbranch_execz .LBB6_651
; %bb.17:
	flat_load_dwordx4 v[8:11], v[48:49] offset:16
	s_trap 2
	s_load_dword s10, s[8:9], 0x0
	v_mov_b32_e32 v12, 0
	v_add_u32_e32 v16, 1, v5
	v_cndmask_b32_e64 v5, v5, v16, s[4:5]
	v_bfe_i32 v15, v3, 30, 1
	s_waitcnt lgkmcnt(0)
	s_cmp_lt_u32 s12, s10
	s_cselect_b32 s10, 12, 18
	s_add_u32 s10, s8, s10
	s_addc_u32 s11, s9, 0
	global_load_ushort v12, v12, s[10:11]
	v_add_u32_e32 v16, 1, v5
	v_cndmask_b32_e64 v5, v5, v16, s[6:7]
	v_mov_b32_e32 v39, 4
	s_waitcnt vmcnt(0)
	buffer_store_dword v12, off, s[0:3], s33 offset:288 ; 4-byte Folded Spill
	v_cvt_f32_u32_e32 v12, v3
	v_rcp_iflag_f32_e32 v12, v12
	v_mul_f32_e32 v12, 0x4f7ffffe, v12
	v_cvt_u32_f32_e32 v13, v12
	v_sub_u32_e32 v12, 0, v3
	v_mul_lo_u32 v12, v12, v13
	v_mul_hi_u32 v14, v13, v12
	v_ashrrev_i32_e32 v12, 31, v7
	v_xor_b32_e32 v15, v12, v15
	v_xor_b32_e32 v5, v5, v15
	v_sub_u32_e32 v19, v5, v15
	v_mul_lo_u32 v6, v19, v6
	ds_read_b32 v15, v0
	v_add_u32_e32 v5, v13, v14
	v_sub_u32_e32 v36, v7, v6
	buffer_load_dword v7, off, s[0:3], s33 offset:60 ; 4-byte Folded Reload
	v_sub_u32_e32 v6, 0, v36
	s_waitcnt lgkmcnt(0)
	v_readfirstlane_b32 s12, v15
	s_waitcnt vmcnt(0)
	v_cmp_ge_i32_e64 s[4:5], v7, v27
	s_and_saveexec_b64 s[6:7], s[4:5]
	s_cbranch_execz .LBB6_27
; %bb.18:
	buffer_load_dword v7, off, s[0:3], s33 offset:60 ; 4-byte Folded Reload
                                        ; implicit-def: $vgpr39
	s_waitcnt vmcnt(0)
	v_cmp_ge_u32_e64 s[4:5], v7, v4
	s_and_saveexec_b64 s[10:11], s[4:5]
	s_xor_b64 s[4:5], exec, s[10:11]
	s_cbranch_execz .LBB6_24
; %bb.19:
	buffer_load_dword v13, off, s[0:3], s33 offset:60 ; 4-byte Folded Reload
	v_cndmask_b32_e64 v7, 0, 1, vcc
	v_sub_u32_e32 v7, v61, v7
	s_waitcnt vmcnt(0)
	v_cmp_ge_u32_e32 vcc, v13, v7
	s_and_saveexec_b64 s[10:11], vcc
	s_xor_b64 s[10:11], exec, s[10:11]
; %bb.20:
                                        ; implicit-def: $vgpr4
; %bb.21:
	s_or_saveexec_b64 s[10:11], s[10:11]
	v_mov_b32_e32 v39, 16
	s_xor_b64 exec, exec, s[10:11]
	s_cbranch_execz .LBB6_23
; %bb.22:
	buffer_load_dword v7, off, s[0:3], s33 offset:60 ; 4-byte Folded Reload
	v_sub_u32_e32 v4, v61, v4
	s_waitcnt vmcnt(0)
	v_cmp_lt_i32_e32 vcc, v7, v4
	v_cndmask_b32_e64 v39, 32, 0, vcc
.LBB6_23:
	s_or_b64 exec, exec, s[10:11]
.LBB6_24:
	s_andn2_saveexec_b64 s[4:5], s[4:5]
; %bb.25:
	v_mov_b32_e32 v39, 8
; %bb.26:
	s_or_b64 exec, exec, s[4:5]
.LBB6_27:
	s_or_b64 exec, exec, s[6:7]
	v_and_b32_e32 v4, 36, v39
	v_max_i32_e32 v35, v36, v6
	v_cmp_ne_u32_e32 vcc, 0, v4
	v_mov_b32_e32 v6, -1
	s_and_saveexec_b64 s[4:5], vcc
	s_cbranch_execz .LBB6_29
; %bb.28:
	s_trap 2
	ds_read_b32 v6, v0
.LBB6_29:
	s_or_b64 exec, exec, s[4:5]
	v_mad_u64_u32 v[25:26], s[4:5], v1, v5, 0
	v_mad_u64_u32 v[29:30], s[4:5], v35, v5, 0
	v_and_b32_e32 v4, 24, v39
	v_cmp_ne_u32_e64 s[4:5], 0, v4
	s_and_saveexec_b64 s[6:7], s[4:5]
	s_cbranch_execz .LBB6_31
; %bb.30:
	s_trap 2
	s_waitcnt lgkmcnt(0)
	ds_read_b32 v6, v0
.LBB6_31:
	s_or_b64 exec, exec, s[6:7]
	v_mov_b32_e32 v4, 0
	v_mov_b32_e32 v5, 0
	buffer_store_dword v4, off, s[0:3], s33 offset:276 ; 4-byte Folded Spill
	s_nop 0
	buffer_store_dword v5, off, s[0:3], s33 offset:280 ; 4-byte Folded Spill
	v_mov_b32_e32 v4, 0
	v_mov_b32_e32 v5, 0
	buffer_store_dword v4, off, s[0:3], s33 offset:64 ; 4-byte Folded Spill
	s_nop 0
	buffer_store_dword v5, off, s[0:3], s33 offset:68 ; 4-byte Folded Spill
	s_waitcnt lgkmcnt(0)
	buffer_store_dword v6, off, s[0:3], s33 offset:72 ; 4-byte Folded Spill
	buffer_store_dword v7, off, s[0:3], s33 offset:76 ; 4-byte Folded Spill
                                        ; implicit-def: $vgpr4_vgpr5
                                        ; kill: killed $vgpr4_vgpr5
                                        ; implicit-def: $vgpr60
                                        ; implicit-def: $vgpr22_vgpr23
                                        ; implicit-def: $vgpr31_vgpr32
                                        ; implicit-def: $vgpr14_vgpr15
                                        ; implicit-def: $vgpr16_vgpr17
	v_ashrrev_i32_e32 v7, 31, v6
	s_and_saveexec_b64 s[4:5], vcc
	s_cbranch_execz .LBB6_41
; %bb.32:
	s_trap 2
	ds_read_b64 v[4:5], v0
	v_lshlrev_b64 v[13:14], 3, v[6:7]
	s_waitcnt lgkmcnt(0)
	v_add_co_u32_e32 v4, vcc, v4, v13
	v_addc_co_u32_e32 v5, vcc, v5, v14, vcc
	flat_load_dwordx2 v[20:21], v[4:5]
	s_waitcnt vmcnt(0) lgkmcnt(0)
	flat_load_dword v4, v[20:21] offset:640
	s_waitcnt vmcnt(0) lgkmcnt(0)
	v_cmp_eq_u32_e32 vcc, 1, v4
                                        ; implicit-def: $vgpr4_vgpr5
                                        ; kill: killed $vgpr4_vgpr5
	s_and_saveexec_b64 s[6:7], vcc
	s_cbranch_execz .LBB6_34
; %bb.33:
	flat_load_dwordx2 v[13:14], v[20:21] offset:648
	v_or_b32_e32 v39, 0x2000, v39
	s_waitcnt vmcnt(0) lgkmcnt(0)
	flat_load_dwordx2 v[4:5], v[13:14]
	s_trap 2
	s_waitcnt vmcnt(0) lgkmcnt(0)
	ds_write_b64 v0, v[4:5]
	flat_load_dwordx2 v[4:5], v[13:14] offset:8
	s_waitcnt vmcnt(0) lgkmcnt(0)
	ds_write_b64 v0, v[4:5]
	buffer_store_dword v13, off, s[0:3], s33 offset:300 ; 4-byte Folded Spill
	s_nop 0
	buffer_store_dword v14, off, s[0:3], s33 offset:304 ; 4-byte Folded Spill
	flat_load_dwordx2 v[4:5], v[13:14] offset:16
	s_waitcnt vmcnt(0) lgkmcnt(0)
	ds_write_b64 v0, v[4:5]
.LBB6_34:
	s_or_b64 exec, exec, s[6:7]
	flat_load_dwordx2 v[4:5], v[20:21] offset:608
	v_and_b32_e32 v13, 32, v39
                                        ; implicit-def: $vgpr16_vgpr17
	s_waitcnt vmcnt(0) lgkmcnt(0)
	v_add_co_u32_e32 v4, vcc, 3, v4
	v_addc_co_u32_e32 v32, vcc, 0, v5, vcc
	v_and_b32_e32 v31, -4, v4
	v_cmp_ne_u32_e32 vcc, 0, v13
	s_and_saveexec_b64 s[6:7], vcc
	s_cbranch_execz .LBB6_36
; %bb.35:
	flat_load_dwordx2 v[16:17], v[20:21] offset:560
	s_waitcnt vmcnt(0) lgkmcnt(0)
	flat_store_dwordx2 v[16:17], v[31:32]
.LBB6_36:
	s_or_b64 exec, exec, s[6:7]
	v_add_co_u32_e32 v4, vcc, 0x1f8, v20
	v_addc_co_u32_e32 v5, vcc, 0, v21, vcc
	buffer_store_dword v4, off, s[0:3], s33 offset:276 ; 4-byte Folded Spill
	s_nop 0
	buffer_store_dword v5, off, s[0:3], s33 offset:280 ; 4-byte Folded Spill
	v_mov_b32_e32 v13, 0
	v_and_b32_e32 v4, 4, v39
	v_mov_b32_e32 v14, 0
	buffer_store_dword v13, off, s[0:3], s33 offset:64 ; 4-byte Folded Spill
	s_nop 0
	buffer_store_dword v14, off, s[0:3], s33 offset:68 ; 4-byte Folded Spill
	buffer_store_dword v15, off, s[0:3], s33 offset:72 ; 4-byte Folded Spill
	;; [unrolled: 1-line block ×3, first 2 shown]
	v_cmp_ne_u32_e32 vcc, 0, v4
                                        ; implicit-def: $vgpr60
                                        ; implicit-def: $vgpr22_vgpr23
                                        ; implicit-def: $vgpr14_vgpr15
	s_and_saveexec_b64 s[6:7], vcc
	s_cbranch_execz .LBB6_40
; %bb.37:
	v_and_b32_e32 v4, 0x800, v39
	v_cmp_eq_u32_e32 vcc, 0, v4
	s_and_saveexec_b64 s[10:11], vcc
	s_cbranch_execz .LBB6_39
; %bb.38:
	s_trap 2
	buffer_load_dword v4, off, s[0:3], s33 offset:276 ; 4-byte Folded Reload
	buffer_load_dword v5, off, s[0:3], s33 offset:280 ; 4-byte Folded Reload
	s_waitcnt vmcnt(0)
	ds_write_b64 v0, v[4:5]
.LBB6_39:
	s_or_b64 exec, exec, s[10:11]
	flat_load_dwordx2 v[16:17], v[20:21] offset:552
	v_or_b32_e32 v4, 0x100, v39
	s_waitcnt vmcnt(0) lgkmcnt(0)
	flat_load_dwordx2 v[22:23], v[16:17] glc
	flat_load_dwordx2 v[51:52], v[20:21] offset:600
	flat_load_dword v60, v[20:21] offset:576
	s_nop 0
	flat_load_dwordx2 v[20:21], v[20:21] offset:520
	s_waitcnt vmcnt(0) lgkmcnt(0)
	v_mov_b32_e32 v13, v51
	v_mov_b32_e32 v14, v52
	buffer_store_dword v13, off, s[0:3], s33 offset:64 ; 4-byte Folded Spill
	s_nop 0
	buffer_store_dword v14, off, s[0:3], s33 offset:68 ; 4-byte Folded Spill
	buffer_store_dword v15, off, s[0:3], s33 offset:72 ; 4-byte Folded Spill
	;; [unrolled: 1-line block ×3, first 2 shown]
	v_cmp_eq_u64_e32 vcc, 0, v[51:52]
	v_mov_b32_e32 v14, v20
	v_mov_b32_e32 v15, v21
	v_cndmask_b32_e32 v39, v4, v39, vcc
.LBB6_40:
	s_or_b64 exec, exec, s[6:7]
.LBB6_41:
	s_or_b64 exec, exec, s[4:5]
	v_and_b32_e32 v4, 24, v39
	v_ashrrev_i32_e32 v25, 31, v36
	v_cmp_ne_u32_e32 vcc, 0, v4
                                        ; implicit-def: $vgpr4_vgpr5
                                        ; kill: killed $vgpr4_vgpr5
	s_and_saveexec_b64 s[4:5], vcc
	s_cbranch_execz .LBB6_49
; %bb.42:
	s_trap 2
	ds_read_b64 v[4:5], v0
	v_lshlrev_b64 v[6:7], 3, v[6:7]
	s_waitcnt lgkmcnt(0)
	v_add_co_u32_e32 v4, vcc, v4, v6
	v_addc_co_u32_e32 v5, vcc, v5, v7, vcc
	flat_load_dwordx2 v[4:5], v[4:5]
	s_waitcnt vmcnt(0) lgkmcnt(0)
	buffer_store_dword v4, off, s[0:3], s33 offset:276 ; 4-byte Folded Spill
	s_nop 0
	buffer_store_dword v5, off, s[0:3], s33 offset:280 ; 4-byte Folded Spill
	flat_load_dwordx4 v[51:54], v[4:5] offset:96
	v_or_b32_e32 v4, 0x100, v39
	s_waitcnt vmcnt(0) lgkmcnt(0)
	buffer_store_dword v51, off, s[0:3], s33 offset:64 ; 4-byte Folded Spill
	s_nop 0
	buffer_store_dword v52, off, s[0:3], s33 offset:68 ; 4-byte Folded Spill
	buffer_store_dword v53, off, s[0:3], s33 offset:72 ; 4-byte Folded Spill
	;; [unrolled: 1-line block ×3, first 2 shown]
	v_cmp_eq_u64_e32 vcc, 0, v[51:52]
	v_cndmask_b32_e32 v39, v4, v39, vcc
	v_and_b32_e32 v4, 16, v39
	v_cmp_ne_u32_e32 vcc, 0, v4
                                        ; implicit-def: $vgpr4_vgpr5
                                        ; kill: killed $vgpr4_vgpr5
	s_and_saveexec_b64 s[6:7], vcc
	s_cbranch_execz .LBB6_44
; %bb.43:
	buffer_load_dword v4, off, s[0:3], s33 offset:276 ; 4-byte Folded Reload
	buffer_load_dword v5, off, s[0:3], s33 offset:280 ; 4-byte Folded Reload
	s_waitcnt vmcnt(0)
	flat_load_dwordx2 v[16:17], v[4:5] offset:48
	flat_load_dwordx2 v[6:7], v[4:5] offset:120
	s_waitcnt vmcnt(0) lgkmcnt(0)
	buffer_store_dword v6, off, s[0:3], s33 offset:112 ; 4-byte Folded Spill
	s_nop 0
	buffer_store_dword v7, off, s[0:3], s33 offset:116 ; 4-byte Folded Spill
	flat_load_dwordx2 v[14:15], v[4:5] offset:16
.LBB6_44:
	s_or_b64 exec, exec, s[6:7]
	buffer_load_dword v4, off, s[0:3], s33 offset:64 ; 4-byte Folded Reload
	buffer_load_dword v5, off, s[0:3], s33 offset:68 ; 4-byte Folded Reload
	;; [unrolled: 1-line block ×4, first 2 shown]
	s_waitcnt vmcnt(0)
	v_add_co_u32_e32 v4, vcc, 3, v6
	v_addc_co_u32_e32 v32, vcc, 0, v7, vcc
	v_and_b32_e32 v31, -4, v4
	v_and_b32_e32 v4, 8, v39
	v_cmp_ne_u32_e32 vcc, 0, v4
	s_and_saveexec_b64 s[6:7], vcc
	s_cbranch_execz .LBB6_48
; %bb.45:
	v_and_b32_e32 v4, 0x800, v39
	v_cmp_eq_u32_e32 vcc, 0, v4
	s_and_saveexec_b64 s[10:11], vcc
	s_cbranch_execz .LBB6_47
; %bb.46:
	s_trap 2
	buffer_load_dword v4, off, s[0:3], s33 offset:276 ; 4-byte Folded Reload
	buffer_load_dword v5, off, s[0:3], s33 offset:280 ; 4-byte Folded Reload
	s_waitcnt vmcnt(0)
	ds_write_b64 v0, v[4:5]
.LBB6_47:
	s_or_b64 exec, exec, s[10:11]
	buffer_load_dword v4, off, s[0:3], s33 offset:276 ; 4-byte Folded Reload
	buffer_load_dword v5, off, s[0:3], s33 offset:280 ; 4-byte Folded Reload
	s_waitcnt vmcnt(0)
	flat_load_dwordx2 v[16:17], v[4:5] offset:56
	s_waitcnt vmcnt(0) lgkmcnt(0)
	flat_load_dwordx2 v[22:23], v[16:17] glc
	flat_load_dword v60, v[4:5] offset:72
	flat_load_dwordx2 v[14:15], v[4:5] offset:16
.LBB6_48:
	s_or_b64 exec, exec, s[6:7]
.LBB6_49:
	s_or_b64 exec, exec, s[4:5]
	buffer_load_dword v4, off, s[0:3], s33 offset:60 ; 4-byte Folded Reload
	s_waitcnt vmcnt(0)
	v_cmp_eq_u32_e64 s[4:5], 0, v4
	s_and_saveexec_b64 s[6:7], s[4:5]
	s_cbranch_execz .LBB6_51
; %bb.50:
	v_mov_b32_e32 v4, v10
	v_mov_b32_e32 v5, v11
	;; [unrolled: 1-line block ×4, first 2 shown]
	ds_write2_b64 v0, v[4:5], v[6:7] offset1:1
	v_mov_b32_e32 v4, 0
	v_mov_b32_e32 v5, v4
	s_trap 2
	ds_write_b64 v0, v[4:5]
.LBB6_51:
	s_or_b64 exec, exec, s[6:7]
	v_mov_b32_e32 v20, 0
	v_mov_b32_e32 v21, 0
	s_mov_b32 s49, -1
	s_cmp_lt_i32 s48, -1
	v_cmp_ne_u32_e64 s[6:7], 64, v61
	s_cbranch_scc1 .LBB6_616
; %bb.52:
	v_mul_lo_u32 v4, v26, v3
	s_ashr_i32 s13, s12, 31
	s_lshr_b32 s13, s13, 25
	s_add_i32 s12, s12, s13
	v_sub_u32_e32 v1, v1, v4
	v_sub_u32_e32 v4, v1, v3
	v_cmp_ge_u32_e32 vcc, v1, v3
	v_cndmask_b32_e32 v1, v1, v4, vcc
	v_sub_u32_e32 v4, v1, v3
	v_cmp_ge_u32_e32 vcc, v1, v3
	v_cndmask_b32_e32 v1, v1, v4, vcc
	v_xor_b32_e32 v1, v1, v12
	v_sub_u32_e32 v1, v1, v12
	v_mad_u64_u32 v[4:5], s[10:11], v33, v2, 0
	v_mad_u64_u32 v[6:7], s[10:11], v19, v3, v[1:2]
	v_sub_co_u32_e32 v8, vcc, v24, v4
	v_min_i32_e32 v1, v6, v8
	v_ashrrev_i32_e32 v7, 31, v6
	v_ashrrev_i32_e32 v2, 31, v1
	v_mad_u64_u32 v[4:5], s[10:11], v33, v6, v[1:2]
	v_mul_lo_u32 v29, v33, v7
	v_mul_lo_u32 v1, v34, v6
	v_cmp_lt_i32_e32 vcc, v6, v8
	v_mad_u64_u32 v[11:12], s[10:11], v4, v0, 0
	v_add3_u32 v2, v1, v5, v29
	v_mul_lo_u32 v5, v4, v18
	v_cndmask_b32_e64 v4, 0, 1, vcc
	v_add_co_u32_e32 v4, vcc, v33, v4
	v_mul_lo_u32 v2, v2, v0
	v_mul_lo_u32 v10, v4, v18
	v_mad_u64_u32 v[19:20], s[10:11], v4, v0, 0
	v_mul_lo_u32 v4, v30, v3
	v_addc_co_u32_e32 v9, vcc, 0, v34, vcc
	v_add3_u32 v12, v12, v5, v2
	v_sub_u32_e32 v2, v35, v4
	v_add_u32_e32 v4, 1, v30
	v_cmp_ge_u32_e32 vcc, v2, v3
	v_sub_u32_e32 v5, v2, v3
	v_mul_lo_u32 v9, v9, v0
	v_cndmask_b32_e32 v4, v30, v4, vcc
	v_cndmask_b32_e32 v2, v2, v5, vcc
	v_add_u32_e32 v5, 1, v4
	v_cmp_ge_u32_e32 vcc, v2, v3
	v_cndmask_b32_e32 v2, v4, v5, vcc
	v_xor_b32_e32 v2, v2, v25
	v_add3_u32 v20, v20, v10, v9
	v_sub_u32_e32 v10, v2, v25
	v_ashrrev_i32_e32 v2, 31, v10
	v_mul_lo_u32 v4, v20, v10
	v_mul_lo_u32 v5, v19, v2
	v_mad_u64_u32 v[2:3], s[10:11], v19, v10, 0
	buffer_store_dword v11, off, s[0:3], s33 offset:228 ; 4-byte Folded Spill
	s_nop 0
	buffer_store_dword v12, off, s[0:3], s33 offset:232 ; 4-byte Folded Spill
	v_ashrrev_i32_e32 v9, 31, v8
	v_add3_u32 v3, v3, v5, v4
	v_lshrrev_b32_e32 v4, 31, v3
	v_add_co_u32_e32 v2, vcc, v2, v4
	v_addc_co_u32_e32 v3, vcc, 0, v3, vcc
	v_ashrrev_i64 v[2:3], 1, v[2:3]
	buffer_store_dword v2, off, s[0:3], s33 offset:244 ; 4-byte Folded Spill
	s_nop 0
	buffer_store_dword v3, off, s[0:3], s33 offset:248 ; 4-byte Folded Spill
	v_lshrrev_b32_e32 v2, 31, v20
	v_add_co_u32_e32 v2, vcc, v19, v2
	v_addc_co_u32_e32 v3, vcc, 0, v20, vcc
	v_ashrrev_i64 v[2:3], 1, v[2:3]
	s_abs_i32 s52, s48
	v_sub_co_u32_e32 v11, vcc, v19, v2
	buffer_store_dword v19, off, s[0:3], s33 offset:236 ; 4-byte Folded Spill
	s_nop 0
	buffer_store_dword v20, off, s[0:3], s33 offset:240 ; 4-byte Folded Spill
	buffer_load_dword v21, off, s[0:3], s33 offset:60 ; 4-byte Folded Reload
	s_ashr_i32 s51, s12, 7
	v_cmp_eq_u32_e64 s[22:23], 0, v10
	v_cndmask_b32_e64 v2, v11, v2, s[22:23]
	s_sub_i32 s26, 0, s52
	v_and_b32_e32 v34, 0x3ffffe00, v28
	s_lshr_b32 s10, s48, 31
	s_mov_b32 s27, 0
	v_mov_b32_e32 v35, 0
	s_add_i32 s10, s48, s10
	v_lshrrev_b32_e32 v24, 6, v61
	s_ashr_i32 s50, s10, 1
	v_lshlrev_b32_e32 v44, 10, v24
	v_lshlrev_b32_e32 v26, 11, v24
	v_and_b32_e32 v30, 0x3fc0, v61
	s_waitcnt lgkmcnt(0)
	v_ashrrev_i32_e32 v36, 31, v60
	v_cmp_eq_u32_e64 s[16:17], 64, v61
	s_movk_i32 s54, 0x1000
	s_movk_i32 s55, 0x108
	v_subb_co_u32_e32 v12, vcc, v20, v3, vcc
	v_cmp_lt_i64_e32 vcc, v[6:7], v[8:9]
	v_cndmask_b32_e64 v3, v12, v3, s[22:23]
	v_cndmask_b32_e32 v5, v9, v7, vcc
	buffer_load_dword v7, off, s[0:3], s33 offset:284 ; 4-byte Folded Reload
	s_waitcnt vmcnt(1)
	v_ashrrev_i32_e32 v4, 31, v21
	v_lshrrev_b32_e32 v4, 26, v4
	v_add_u32_e32 v4, v21, v4
	v_ashrrev_i32_e32 v19, 6, v4
	v_and_b32_e32 v4, 0xffffffc0, v4
	v_sub_u32_e32 v13, v21, v4
	v_lshlrev_b32_e32 v4, 4, v13
	v_lshl_add_u32 v38, v19, 13, v4
	v_cndmask_b32_e32 v4, v8, v6, vcc
	buffer_store_dword v13, off, s[0:3], s33 offset:164 ; 4-byte Folded Spill
	s_trap 2
	buffer_load_dword v8, off, s[0:3], s33 offset:288 ; 4-byte Folded Reload
	v_mad_u64_u32 v[4:5], s[18:19], v33, v6, v[4:5]
	v_ashrrev_i32_e32 v20, 31, v19
	v_cmp_lt_i32_e64 s[14:15], v13, v27
	v_add3_u32 v1, v1, v5, v29
	v_mul_lo_u32 v1, v1, v0
	v_mov_b32_e32 v28, v20
	v_cmp_ge_i32_e32 vcc, v21, v61
	v_mov_b32_e32 v27, v19
	v_mov_b32_e32 v20, 0
	v_cmp_gt_i32_e64 s[10:11], 1, v13
	v_ashrrev_i32_e32 v51, 31, v38
	v_mov_b32_e32 v21, 0
	v_mov_b32_e32 v12, 0
	;; [unrolled: 1-line block ×3, first 2 shown]
	s_waitcnt vmcnt(2)
	v_and_b32_e32 v7, 63, v7
	v_cmp_eq_u32_e64 s[12:13], 0, v7
	v_cvt_f32_u32_e32 v7, s52
	v_rcp_iflag_f32_e32 v7, v7
	v_mul_f32_e32 v6, 0x4f7ffffe, v7
	v_cvt_u32_f32_e32 v6, v6
	s_waitcnt vmcnt(0)
	v_cmp_ne_u32_sdwa s[28:29], v61, v8 src0_sel:DWORD src1_sel:WORD_0
	buffer_load_dword v8, off, s[0:3], s33 offset:112 ; 4-byte Folded Reload
	buffer_load_dword v9, off, s[0:3], s33 offset:116 ; 4-byte Folded Reload
	v_readfirstlane_b32 s40, v6
	buffer_store_dword v3, off, s[0:3], s33 offset:252 ; 4-byte Folded Spill
	buffer_store_dword v2, off, s[0:3], s33 offset:256 ; 4-byte Folded Spill
	v_mul_lo_u32 v2, v4, v18
	v_mad_u64_u32 v[3:4], s[22:23], v4, v0, 0
	s_mul_i32 s26, s26, s40
	s_mul_hi_u32 s22, s40, s26
	s_add_i32 s53, s40, s22
	v_add3_u32 v4, v4, v2, v1
	s_xor_b64 s[40:41], vcc, -1
	s_mov_b32 s26, s27
	buffer_store_dword v3, off, s[0:3], s33 offset:292 ; 4-byte Folded Spill
	s_nop 0
	buffer_store_dword v4, off, s[0:3], s33 offset:296 ; 4-byte Folded Spill
	s_waitcnt vmcnt(4)
	v_mov_b32_e32 v11, v9
	v_cmp_eq_u64_e64 s[18:19], 0, v[8:9]
	v_cmp_ne_u64_e64 s[20:21], 0, v[8:9]
	v_mov_b32_e32 v10, v8
	v_mov_b32_e32 v8, v34
	;; [unrolled: 1-line block ×5, first 2 shown]
	buffer_store_dword v61, off, s[0:3], s33 offset:224 ; 4-byte Folded Spill
	buffer_store_dword v48, off, s[0:3], s33 offset:260 ; 4-byte Folded Spill
	s_nop 0
	buffer_store_dword v49, off, s[0:3], s33 offset:264 ; 4-byte Folded Spill
	buffer_store_dword v37, off, s[0:3], s33 offset:268 ; 4-byte Folded Spill
	;; [unrolled: 1-line block ×5, first 2 shown]
	s_nop 0
	buffer_store_dword v15, off, s[0:3], s33 offset:124 ; 4-byte Folded Spill
	buffer_store_dword v8, off, s[0:3], s33 offset:216 ; 4-byte Folded Spill
	s_nop 0
	buffer_store_dword v9, off, s[0:3], s33 offset:220 ; 4-byte Folded Spill
	buffer_store_dword v27, off, s[0:3], s33 offset:96 ; 4-byte Folded Spill
	;; [unrolled: 3-line block ×3, first 2 shown]
	buffer_store_dword v36, off, s[0:3], s33 offset:108 ; 4-byte Folded Spill
.LBB6_53:                               ; =>This Loop Header: Depth=1
                                        ;     Child Loop BB6_61 Depth 2
                                        ;     Child Loop BB6_68 Depth 2
	;; [unrolled: 1-line block ×5, first 2 shown]
                                        ;       Child Loop BB6_93 Depth 3
                                        ;         Child Loop BB6_101 Depth 4
                                        ;         Child Loop BB6_125 Depth 4
	;; [unrolled: 1-line block ×8, first 2 shown]
                                        ;       Child Loop BB6_213 Depth 3
                                        ;         Child Loop BB6_219 Depth 4
                                        ;         Child Loop BB6_243 Depth 4
                                        ;       Child Loop BB6_265 Depth 3
                                        ;         Child Loop BB6_268 Depth 4
                                        ;           Child Loop BB6_276 Depth 5
                                        ;           Child Loop BB6_304 Depth 5
	;; [unrolled: 1-line block ×8, first 2 shown]
                                        ;         Child Loop BB6_393 Depth 4
                                        ;           Child Loop BB6_399 Depth 5
                                        ;           Child Loop BB6_427 Depth 5
                                        ;       Child Loop BB6_448 Depth 3
                                        ;         Child Loop BB6_456 Depth 4
                                        ;         Child Loop BB6_480 Depth 4
	;; [unrolled: 1-line block ×8, first 2 shown]
                                        ;       Child Loop BB6_567 Depth 3
                                        ;         Child Loop BB6_573 Depth 4
                                        ;         Child Loop BB6_597 Depth 4
	s_sub_i32 s22, s48, s26
	s_ashr_i32 s23, s22, 31
	s_abs_i32 s22, s22
	s_mul_hi_u32 s42, s22, s53
	s_mul_i32 s42, s42, s52
	s_sub_i32 s22, s22, s42
	s_sub_i32 s42, s22, s52
	s_cmp_ge_u32 s22, s52
	s_cselect_b32 s22, s42, s22
	s_sub_i32 s42, s22, s52
	s_cmp_ge_u32 s22, s52
	s_trap 2
	ds_read_b64 v[0:1], v0
	s_cselect_b32 s22, s42, s22
	s_xor_b32 s22, s22, s23
	s_sub_i32 s22, s22, s23
	s_ashr_i32 s23, s22, 31
	s_lshl_b64 s[22:23], s[22:23], 2
	s_waitcnt lgkmcnt(0)
	v_add_co_u32_e32 v2, vcc, s22, v0
	v_mov_b32_e32 v3, s23
	v_addc_co_u32_e32 v3, vcc, v1, v3, vcc
	s_lshl_b64 s[22:23], s[26:27], 2
	flat_load_dword v2, v[2:3]
	v_add_co_u32_e32 v0, vcc, s22, v0
	v_mov_b32_e32 v3, s23
	v_addc_co_u32_e32 v1, vcc, v1, v3, vcc
	flat_load_dword v0, v[0:1]
	s_nop 0
	buffer_load_dword v5, off, s[0:3], s33 offset:228 ; 4-byte Folded Reload
	buffer_load_dword v6, off, s[0:3], s33 offset:232 ; 4-byte Folded Reload
	;; [unrolled: 1-line block ×4, first 2 shown]
	s_cmp_lg_u32 s26, 0
	s_waitcnt vmcnt(0) lgkmcnt(0)
	v_ashrrev_i32_e32 v1, 31, v0
	v_mul_lo_u32 v1, v37, v1
	v_mul_lo_u32 v3, v50, v0
	v_mad_u64_u32 v[54:55], s[22:23], v37, v0, 0
	v_add3_u32 v55, v55, v1, v3
	v_add_co_u32_e32 v1, vcc, v54, v5
	v_addc_co_u32_e32 v3, vcc, v55, v6, vcc
	v_cmp_eq_u32_e32 vcc, v2, v0
	v_cndmask_b32_e32 v4, 0, v18, vcc
	v_cndmask_b32_e32 v62, 0, v19, vcc
	v_add_co_u32_e64 v0, s[22:23], v1, v4
	buffer_store_dword v0, off, s[0:3], s33 offset:192 ; 4-byte Folded Spill
	v_addc_co_u32_e64 v0, s[22:23], v3, v62, s[22:23]
	buffer_store_dword v0, off, s[0:3], s33 offset:196 ; 4-byte Folded Spill
	v_ashrrev_i32_e32 v0, 31, v2
	v_mul_lo_u32 v0, v37, v0
	v_mul_lo_u32 v1, v50, v2
	v_mad_u64_u32 v[57:58], s[22:23], v37, v2, 0
	v_add3_u32 v58, v58, v0, v1
	v_add_co_u32_e64 v0, s[22:23], v57, v5
	v_addc_co_u32_e64 v1, s[22:23], v58, v6, s[22:23]
	v_add_co_u32_e64 v0, s[22:23], v0, v4
	buffer_store_dword v0, off, s[0:3], s33 offset:208 ; 4-byte Folded Spill
	v_addc_co_u32_e64 v0, s[22:23], v1, v62, s[22:23]
	buffer_store_dword v0, off, s[0:3], s33 offset:212 ; 4-byte Folded Spill
	buffer_load_dword v0, off, s[0:3], s33 offset:236 ; 4-byte Folded Reload
	s_nop 0
	buffer_load_dword v1, off, s[0:3], s33 offset:240 ; 4-byte Folded Reload
	buffer_load_dword v2, off, s[0:3], s33 offset:252 ; 4-byte Folded Reload
	s_cselect_b64 s[22:23], -1, 0
	s_waitcnt vmcnt(0)
	v_cndmask_b32_e32 v19, v1, v2, vcc
	buffer_load_dword v1, off, s[0:3], s33 offset:256 ; 4-byte Folded Reload
	s_waitcnt vmcnt(0)
	v_cndmask_b32_e32 v18, v0, v1, vcc
	s_and_b64 vcc, exec, s[22:23]
	buffer_store_dword v18, off, s[0:3], s33 offset:168 ; 4-byte Folded Spill
	s_nop 0
	buffer_store_dword v19, off, s[0:3], s33 offset:172 ; 4-byte Folded Spill
	s_cbranch_vccnz .LBB6_84
; %bb.54:                               ;   in Loop: Header=BB6_53 Depth=1
	flat_load_dwordx4 v[40:43], v[48:49] offset:16
	s_mov_b64 s[22:23], -1
	s_waitcnt vmcnt(0) lgkmcnt(0)
	v_cmp_ne_u64_e32 vcc, v[42:43], v[40:41]
	s_and_saveexec_b64 s[42:43], vcc
	s_cbranch_execz .LBB6_83
; %bb.55:                               ;   in Loop: Header=BB6_53 Depth=1
	s_mov_b64 s[44:45], 0
	s_and_saveexec_b64 s[22:23], s[10:11]
	s_cbranch_execz .LBB6_57
; %bb.56:                               ;   in Loop: Header=BB6_53 Depth=1
	buffer_load_dword v0, off, s[0:3], s33 offset:192 ; 4-byte Folded Reload
	buffer_load_dword v1, off, s[0:3], s33 offset:208 ; 4-byte Folded Reload
	s_waitcnt vmcnt(1)
	v_add_u32_e32 v0, v42, v0
	s_waitcnt vmcnt(0)
	v_add_u32_e32 v1, v40, v1
	v_or_b32_e32 v0, v0, v1
	v_and_b32_e32 v0, 15, v0
	v_cmp_ne_u32_e32 vcc, 0, v0
	s_and_b64 s[44:45], vcc, exec
.LBB6_57:                               ;   in Loop: Header=BB6_53 Depth=1
	s_or_b64 exec, exec, s[22:23]
	v_cndmask_b32_e64 v0, 0, 1, s[44:45]
	v_cmp_ne_u32_e32 vcc, 0, v0
	v_lshlrev_b32_e32 v5, 13, v24
	buffer_store_dword v40, off, s[0:3], s33 offset:176 ; 4-byte Folded Spill
	s_nop 0
	buffer_store_dword v41, off, s[0:3], s33 offset:180 ; 4-byte Folded Spill
	buffer_store_dword v42, off, s[0:3], s33 offset:184 ; 4-byte Folded Spill
	;; [unrolled: 1-line block ×3, first 2 shown]
	s_cbranch_vccz .LBB6_59
; %bb.58:                               ;   in Loop: Header=BB6_53 Depth=1
	buffer_load_dword v40, off, s[0:3], s33 offset:60 ; 4-byte Folded Reload
	v_mov_b32_e32 v7, 0
	v_mov_b32_e32 v43, v19
	;; [unrolled: 1-line block ×3, first 2 shown]
	s_mov_b64 s[22:23], -1
	v_mov_b32_e32 v8, 0
	v_mov_b32_e32 v42, v18
	;; [unrolled: 1-line block ×4, first 2 shown]
	s_and_saveexec_b64 s[44:45], s[22:23]
	s_cbranch_execnz .LBB6_74
	s_branch .LBB6_82
.LBB6_59:                               ;   in Loop: Header=BB6_53 Depth=1
	v_ashrrev_i32_e32 v0, 31, v19
	v_lshrrev_b32_e32 v0, 19, v0
	v_add_co_u32_e32 v0, vcc, v18, v0
	v_addc_co_u32_e32 v1, vcc, 0, v19, vcc
	v_ashrrev_i64 v[52:53], 13, v[0:1]
	v_sub_co_u32_e32 v44, vcc, v52, v27
	v_subb_co_u32_e32 v45, vcc, v53, v28, vcc
	v_cmp_lt_i64_e32 vcc, 0, v[44:45]
	s_and_saveexec_b64 s[22:23], vcc
	s_cbranch_execz .LBB6_63
; %bb.60:                               ;   in Loop: Header=BB6_53 Depth=1
	buffer_load_dword v0, off, s[0:3], s33 offset:292 ; 4-byte Folded Reload
	buffer_load_dword v1, off, s[0:3], s33 offset:296 ; 4-byte Folded Reload
	v_mov_b32_e32 v18, v57
	v_mov_b32_e32 v19, v58
	s_mov_b64 s[44:45], 0
	s_waitcnt vmcnt(1)
	v_add_co_u32_e32 v0, vcc, v0, v4
	s_waitcnt vmcnt(0)
	v_addc_co_u32_e32 v1, vcc, v1, v62, vcc
	v_add_co_u32_e32 v2, vcc, v0, v42
	v_addc_co_u32_e32 v3, vcc, v1, v43, vcc
	v_add_co_u32_e32 v60, vcc, v2, v54
	;; [unrolled: 2-line block ×4, first 2 shown]
	v_addc_co_u32_e32 v47, vcc, v1, v58, vcc
.LBB6_61:                               ;   Parent Loop BB6_53 Depth=1
                                        ; =>  This Inner Loop Header: Depth=2
	v_add_co_u32_e32 v0, vcc, v38, v60
	v_addc_co_u32_e32 v1, vcc, v51, v25, vcc
	global_load_dwordx4 v[56:59], v[0:1], off glc slc
	global_load_dwordx4 v[6:9], v[0:1], off offset:1024 glc slc
	v_add_co_u32_e32 v2, vcc, v38, v46
	v_addc_co_u32_e32 v3, vcc, v51, v47, vcc
	s_waitcnt vmcnt(0)
	buffer_store_dword v6, off, s[0:3], s33 offset:80 ; 4-byte Folded Spill
	s_nop 0
	buffer_store_dword v7, off, s[0:3], s33 offset:84 ; 4-byte Folded Spill
	buffer_store_dword v8, off, s[0:3], s33 offset:88 ; 4-byte Folded Spill
	;; [unrolled: 1-line block ×3, first 2 shown]
	global_load_dwordx4 v[6:9], v[0:1], off offset:2048 glc slc
	s_waitcnt vmcnt(0)
	buffer_store_dword v6, off, s[0:3], s33 offset:132 ; 4-byte Folded Spill
	s_nop 0
	buffer_store_dword v7, off, s[0:3], s33 offset:136 ; 4-byte Folded Spill
	buffer_store_dword v8, off, s[0:3], s33 offset:140 ; 4-byte Folded Spill
	;; [unrolled: 1-line block ×3, first 2 shown]
	global_load_dwordx4 v[6:9], v[0:1], off offset:3072 glc slc
	v_add_co_u32_e32 v0, vcc, s54, v0
	v_addc_co_u32_e32 v1, vcc, 0, v1, vcc
	s_waitcnt vmcnt(0)
	buffer_store_dword v6, off, s[0:3], s33 offset:148 ; 4-byte Folded Spill
	s_nop 0
	buffer_store_dword v7, off, s[0:3], s33 offset:152 ; 4-byte Folded Spill
	buffer_store_dword v8, off, s[0:3], s33 offset:156 ; 4-byte Folded Spill
	;; [unrolled: 1-line block ×3, first 2 shown]
	global_load_dwordx4 v[6:9], v[0:1], off glc slc
	s_nop 0
	global_load_dwordx4 v[27:30], v[0:1], off offset:1024 glc slc
	global_load_dwordx4 v[33:36], v[0:1], off offset:2048 glc slc
	;; [unrolled: 1-line block ×3, first 2 shown]
	v_add_co_u32_e32 v0, vcc, s54, v2
	global_store_dwordx4 v[2:3], v[56:59], off glc slc
	buffer_load_dword v56, off, s[0:3], s33 offset:80 ; 4-byte Folded Reload
	s_nop 0
	buffer_load_dword v57, off, s[0:3], s33 offset:84 ; 4-byte Folded Reload
	buffer_load_dword v58, off, s[0:3], s33 offset:88 ; 4-byte Folded Reload
	;; [unrolled: 1-line block ×3, first 2 shown]
	v_addc_co_u32_e32 v1, vcc, 0, v3, vcc
	v_sub_co_u32_e32 v44, vcc, v44, v24
	v_subbrev_co_u32_e32 v45, vcc, 0, v45, vcc
	v_add_co_u32_e32 v60, vcc, v60, v5
	v_addc_co_u32_e32 v25, vcc, 0, v25, vcc
	v_add_co_u32_e32 v46, vcc, v46, v5
	v_addc_co_u32_e32 v47, vcc, 0, v47, vcc
	v_cmp_gt_i64_e32 vcc, 1, v[44:45]
	s_or_b64 s[44:45], vcc, s[44:45]
	s_waitcnt vmcnt(0)
	global_store_dwordx4 v[2:3], v[56:59], off offset:1024 glc slc
	buffer_load_dword v56, off, s[0:3], s33 offset:132 ; 4-byte Folded Reload
	s_nop 0
	buffer_load_dword v57, off, s[0:3], s33 offset:136 ; 4-byte Folded Reload
	buffer_load_dword v58, off, s[0:3], s33 offset:140 ; 4-byte Folded Reload
	;; [unrolled: 1-line block ×3, first 2 shown]
	s_waitcnt vmcnt(0)
	global_store_dwordx4 v[2:3], v[56:59], off offset:2048 glc slc
	buffer_load_dword v56, off, s[0:3], s33 offset:148 ; 4-byte Folded Reload
	s_nop 0
	buffer_load_dword v57, off, s[0:3], s33 offset:152 ; 4-byte Folded Reload
	buffer_load_dword v58, off, s[0:3], s33 offset:156 ; 4-byte Folded Reload
	;; [unrolled: 1-line block ×3, first 2 shown]
	s_waitcnt vmcnt(0)
	global_store_dwordx4 v[2:3], v[56:59], off offset:3072 glc slc
	global_store_dwordx4 v[0:1], v[6:9], off glc slc
	global_store_dwordx4 v[0:1], v[27:30], off offset:1024 glc slc
	global_store_dwordx4 v[0:1], v[33:36], off offset:2048 glc slc
	;; [unrolled: 1-line block ×3, first 2 shown]
	s_andn2_b64 exec, exec, s[44:45]
	s_cbranch_execnz .LBB6_61
; %bb.62:                               ;   in Loop: Header=BB6_53 Depth=1
	s_or_b64 exec, exec, s[44:45]
	buffer_load_dword v27, off, s[0:3], s33 offset:96 ; 4-byte Folded Reload
	buffer_load_dword v28, off, s[0:3], s33 offset:100 ; 4-byte Folded Reload
	buffer_load_dword v30, off, s[0:3], s33 offset:104 ; 4-byte Folded Reload
	buffer_load_dword v36, off, s[0:3], s33 offset:108 ; 4-byte Folded Reload
	v_mov_b32_e32 v58, v19
	v_mov_b32_e32 v29, 1
	;; [unrolled: 1-line block ×5, first 2 shown]
.LBB6_63:                               ;   in Loop: Header=BB6_53 Depth=1
	s_or_b64 exec, exec, s[22:23]
	buffer_load_dword v0, off, s[0:3], s33 offset:168 ; 4-byte Folded Reload
	buffer_load_dword v1, off, s[0:3], s33 offset:172 ; 4-byte Folded Reload
	v_lshlrev_b64 v[45:46], 13, v[52:53]
	v_mov_b32_e32 v7, 0
	v_mov_b32_e32 v8, 0
	s_mov_b64 s[22:23], 0
                                        ; implicit-def: $vgpr42_vgpr43
                                        ; implicit-def: $vgpr40
                                        ; implicit-def: $vgpr56
                                        ; implicit-def: $vgpr59_vgpr60
	s_waitcnt vmcnt(0)
	v_cmp_ne_u64_e32 vcc, v[0:1], v[45:46]
	s_and_saveexec_b64 s[44:45], vcc
	s_cbranch_execz .LBB6_73
; %bb.64:                               ;   in Loop: Header=BB6_53 Depth=1
	buffer_load_dword v0, off, s[0:3], s33 offset:168 ; 4-byte Folded Reload
	buffer_load_dword v1, off, s[0:3], s33 offset:172 ; 4-byte Folded Reload
	v_mov_b32_e32 v18, v57
	v_mov_b32_e32 v19, v58
	s_waitcnt vmcnt(1)
	v_sub_co_u32_e32 v40, vcc, v0, v45
	s_waitcnt vmcnt(0)
	v_subb_co_u32_e32 v47, vcc, v1, v46, vcc
	v_ashrrev_i32_e32 v0, 31, v47
	v_lshrrev_b32_e32 v0, 22, v0
	v_add_co_u32_e32 v0, vcc, v40, v0
	v_addc_co_u32_e32 v1, vcc, 0, v47, vcc
	v_ashrrev_i64 v[57:58], 10, v[0:1]
	v_and_b32_e32 v0, 0xfffffc00, v0
	v_add_co_u32_e32 v7, vcc, v0, v45
	v_addc_co_u32_e32 v8, vcc, v1, v46, vcc
	v_sub_co_u32_e32 v42, vcc, v40, v0
	v_subb_co_u32_e32 v43, vcc, v47, v1, vcc
	v_cmp_lt_i64_e32 vcc, 15, v[42:43]
	s_and_saveexec_b64 s[22:23], vcc
	s_cbranch_execz .LBB6_66
; %bb.65:                               ;   in Loop: Header=BB6_53 Depth=1
	buffer_load_dword v0, off, s[0:3], s33 offset:168 ; 4-byte Folded Reload
	buffer_load_dword v1, off, s[0:3], s33 offset:172 ; 4-byte Folded Reload
	v_add_co_u32_e32 v57, vcc, 1, v57
	v_addc_co_u32_e32 v58, vcc, 0, v58, vcc
	s_waitcnt vmcnt(0)
	v_mov_b32_e32 v1, v12
	v_and_b32_e32 v0, 15, v0
	v_sub_co_u32_e32 v2, vcc, v42, v0
	v_subbrev_co_u32_e32 v3, vcc, 0, v43, vcc
	v_add_co_u32_e32 v7, vcc, v2, v7
	v_mov_b32_e32 v43, v1
	v_addc_co_u32_e32 v8, vcc, v3, v8, vcc
	v_mov_b32_e32 v42, v0
.LBB6_66:                               ;   in Loop: Header=BB6_53 Depth=1
	s_or_b64 exec, exec, s[22:23]
	buffer_load_dword v1, off, s[0:3], s33 offset:164 ; 4-byte Folded Reload
	v_lshlrev_b32_e32 v0, 6, v44
	s_waitcnt vmcnt(0)
	v_sub_u32_e32 v0, v1, v0
	v_ashrrev_i32_e32 v1, 31, v0
	v_lshrrev_b32_e32 v1, 26, v1
	v_add_u32_e32 v1, v0, v1
	v_ashrrev_i32_e32 v2, 6, v1
	v_and_b32_e32 v1, 0xffffffc0, v1
	v_sub_u32_e32 v3, v0, v1
	v_lshlrev_b32_e32 v0, 4, v3
	v_lshl_add_u32 v56, v2, 10, v0
	v_ashrrev_i32_e32 v41, 31, v56
	v_sub_co_u32_e32 v59, vcc, v40, v56
	v_subb_co_u32_e32 v60, vcc, v47, v41, vcc
	v_ashrrev_i32_e32 v0, 31, v2
	v_sub_co_u32_e32 v57, vcc, v57, v2
	v_subb_co_u32_e32 v58, vcc, v58, v0, vcc
	v_cmp_lt_i64_e32 vcc, 15, v[59:60]
	s_and_saveexec_b64 s[46:47], vcc
	s_cbranch_execz .LBB6_70
; %bb.67:                               ;   in Loop: Header=BB6_53 Depth=1
	v_mov_b32_e32 v53, v8
	v_mov_b32_e32 v52, v7
	buffer_load_dword v5, off, s[0:3], s33 offset:176 ; 4-byte Folded Reload
	buffer_load_dword v6, off, s[0:3], s33 offset:180 ; 4-byte Folded Reload
	;; [unrolled: 1-line block ×6, first 2 shown]
	s_mov_b64 s[56:57], 0
	v_lshlrev_b32_e32 v2, 10, v24
	s_waitcnt vmcnt(3)
	v_add_co_u32_e32 v40, vcc, v7, v54
	s_waitcnt vmcnt(2)
	v_addc_co_u32_e32 v44, vcc, v8, v55, vcc
	s_waitcnt vmcnt(1)
	v_add_co_u32_e32 v0, vcc, v0, v4
	s_waitcnt vmcnt(0)
	v_addc_co_u32_e32 v1, vcc, v1, v62, vcc
	v_add_co_u32_e32 v0, vcc, v0, v45
	v_addc_co_u32_e32 v1, vcc, v1, v46, vcc
	v_add_co_u32_e32 v45, vcc, v0, v56
	v_addc_co_u32_e32 v46, vcc, v1, v41, vcc
	v_mov_b32_e32 v0, v18
	v_mov_b32_e32 v1, v19
	v_add_co_u32_e32 v47, vcc, v5, v0
	v_addc_co_u32_e32 v56, vcc, v6, v1, vcc
.LBB6_68:                               ;   Parent Loop BB6_53 Depth=1
                                        ; =>  This Inner Loop Header: Depth=2
	v_add_co_u32_e32 v0, vcc, v40, v45
	v_addc_co_u32_e32 v1, vcc, v44, v46, vcc
	global_load_dwordx4 v[6:9], v[0:1], off glc slc
	v_add_co_u32_e32 v0, vcc, v47, v45
	v_addc_co_u32_e32 v1, vcc, v56, v46, vcc
	v_sub_co_u32_e32 v59, vcc, v59, v2
	v_subbrev_co_u32_e32 v60, vcc, 0, v60, vcc
	v_sub_co_u32_e32 v57, vcc, v57, v24
	v_subbrev_co_u32_e32 v58, vcc, 0, v58, vcc
	v_cmp_gt_i64_e64 s[22:23], 16, v[59:60]
	v_add_co_u32_e32 v45, vcc, v45, v2
	v_addc_co_u32_e32 v46, vcc, 0, v46, vcc
	s_or_b64 s[56:57], s[22:23], s[56:57]
	s_waitcnt vmcnt(0)
	global_store_dwordx4 v[0:1], v[6:9], off glc slc
	s_andn2_b64 exec, exec, s[56:57]
	s_cbranch_execnz .LBB6_68
; %bb.69:                               ;   in Loop: Header=BB6_53 Depth=1
	s_or_b64 exec, exec, s[56:57]
	v_mov_b32_e32 v7, v52
	v_mov_b32_e32 v8, v53
.LBB6_70:                               ;   in Loop: Header=BB6_53 Depth=1
	s_or_b64 exec, exec, s[46:47]
	v_cmp_ne_u64_e32 vcc, 0, v[42:43]
	s_mov_b64 s[46:47], 0
                                        ; implicit-def: $vgpr40
                                        ; implicit-def: $vgpr56
                                        ; implicit-def: $vgpr59_vgpr60
	s_and_saveexec_b64 s[22:23], vcc
	s_cbranch_execz .LBB6_72
; %bb.71:                               ;   in Loop: Header=BB6_53 Depth=1
	v_cmp_lt_i64_e32 vcc, 0, v[57:58]
	s_mov_b64 s[46:47], exec
	v_cndmask_b32_e32 v0, 0, v24, vcc
	v_sub_u32_e32 v0, v0, v57
	v_lshl_add_u32 v40, v0, 6, v3
	v_ashrrev_i32_e32 v0, 31, v40
	v_lshrrev_b32_e32 v0, 26, v0
	v_add_u32_e32 v0, v40, v0
	v_ashrrev_i32_e32 v56, 6, v0
	v_ashrrev_i32_e32 v57, 31, v56
	v_mov_b32_e32 v60, v57
	v_mov_b32_e32 v59, v56
.LBB6_72:                               ;   in Loop: Header=BB6_53 Depth=1
	s_or_b64 exec, exec, s[22:23]
	v_mov_b32_e32 v58, v19
	s_and_b64 s[22:23], s[46:47], exec
	v_mov_b32_e32 v57, v18
.LBB6_73:                               ;   in Loop: Header=BB6_53 Depth=1
	s_or_b64 exec, exec, s[44:45]
	s_and_saveexec_b64 s[44:45], s[22:23]
	s_cbranch_execz .LBB6_82
.LBB6_74:                               ;   in Loop: Header=BB6_53 Depth=1
	v_ashrrev_i32_e32 v0, 31, v43
	v_lshrrev_b32_e32 v0, 21, v0
	v_add_co_u32_e32 v0, vcc, v42, v0
	v_addc_co_u32_e32 v1, vcc, 0, v43, vcc
	v_ashrrev_i64 v[46:47], 11, v[0:1]
	s_waitcnt vmcnt(0)
	v_ashrrev_i32_e32 v0, 31, v40
	v_sub_co_u32_e32 v44, vcc, v46, v59
	v_subb_co_u32_e32 v45, vcc, v47, v60, vcc
	v_cmp_lt_i64_e32 vcc, 0, v[44:45]
	v_lshrrev_b32_e32 v0, 26, v0
	s_and_saveexec_b64 s[22:23], vcc
	s_cbranch_execz .LBB6_78
; %bb.75:                               ;   in Loop: Header=BB6_53 Depth=1
	v_mov_b32_e32 v53, v0
	v_add_u32_e32 v0, v40, v0
	v_and_b32_e32 v0, 0xffffffc0, v0
	buffer_store_dword v12, off, s[0:3], s33 offset:80 ; 4-byte Folded Spill
	s_nop 0
	buffer_store_dword v13, off, s[0:3], s33 offset:84 ; 4-byte Folded Spill
	buffer_store_dword v20, off, s[0:3], s33 offset:132 ; 4-byte Folded Spill
	s_nop 0
	buffer_store_dword v21, off, s[0:3], s33 offset:136 ; 4-byte Folded Spill
	v_sub_u32_e32 v0, v40, v0
	v_lshl_add_u32 v56, v56, 11, v0
	buffer_load_dword v0, off, s[0:3], s33 offset:228 ; 4-byte Folded Reload
	buffer_load_dword v1, off, s[0:3], s33 offset:232 ; 4-byte Folded Reload
	v_mov_b32_e32 v5, v57
	v_mov_b32_e32 v6, v58
	v_ashrrev_i32_e32 v57, 31, v56
	s_mov_b64 s[46:47], 0
	s_waitcnt vmcnt(1)
	v_add_co_u32_e32 v0, vcc, v0, v4
	s_waitcnt vmcnt(0)
	v_addc_co_u32_e32 v1, vcc, v1, v62, vcc
	v_add_co_u32_e32 v0, vcc, v0, v7
	buffer_store_dword v7, off, s[0:3], s33 offset:200 ; 4-byte Folded Spill
	s_nop 0
	buffer_store_dword v8, off, s[0:3], s33 offset:204 ; 4-byte Folded Spill
	v_addc_co_u32_e32 v1, vcc, v1, v8, vcc
	buffer_load_dword v7, off, s[0:3], s33 offset:176 ; 4-byte Folded Reload
	buffer_load_dword v8, off, s[0:3], s33 offset:180 ; 4-byte Folded Reload
	;; [unrolled: 1-line block ×4, first 2 shown]
	s_waitcnt vmcnt(1)
	v_add_co_u32_e32 v2, vcc, v0, v9
	s_waitcnt vmcnt(0)
	v_addc_co_u32_e32 v3, vcc, v1, v10, vcc
	v_add_co_u32_e32 v58, vcc, v2, v54
	v_addc_co_u32_e32 v59, vcc, v3, v55, vcc
	v_add_co_u32_e32 v0, vcc, v0, v7
	;; [unrolled: 2-line block ×3, first 2 shown]
	buffer_store_dword v5, off, s[0:3], s33 offset:148 ; 4-byte Folded Spill
	s_nop 0
	buffer_store_dword v6, off, s[0:3], s33 offset:152 ; 4-byte Folded Spill
	v_addc_co_u32_e32 v41, vcc, v1, v6, vcc
.LBB6_76:                               ;   Parent Loop BB6_53 Depth=1
                                        ; =>  This Inner Loop Header: Depth=2
	v_add_co_u32_e32 v0, vcc, v56, v58
	v_addc_co_u32_e32 v1, vcc, v57, v59, vcc
	flat_load_ubyte v2, v[0:1] glc slc
	flat_load_ubyte v3, v[0:1] offset:64 glc slc
	flat_load_ubyte v5, v[0:1] offset:128 glc slc
	;; [unrolled: 1-line block ×31, first 2 shown]
	v_add_co_u32_e32 v0, vcc, v56, v60
	v_addc_co_u32_e32 v1, vcc, v57, v41, vcc
	v_sub_co_u32_e32 v44, vcc, v44, v24
	v_subbrev_co_u32_e32 v45, vcc, 0, v45, vcc
	v_add_co_u32_e32 v58, vcc, v58, v26
	v_addc_co_u32_e32 v59, vcc, 0, v59, vcc
	v_add_co_u32_e32 v60, vcc, v60, v26
	v_addc_co_u32_e32 v41, vcc, 0, v41, vcc
	v_cmp_gt_i64_e32 vcc, 1, v[44:45]
	s_waitcnt vmcnt(0) lgkmcnt(0)
	flat_store_byte v[0:1], v2 glc slc
	flat_store_byte v[0:1], v3 offset:64 glc slc
	flat_store_byte v[0:1], v5 offset:128 glc slc
	;; [unrolled: 1-line block ×31, first 2 shown]
	s_or_b64 s[46:47], vcc, s[46:47]
	s_andn2_b64 exec, exec, s[46:47]
	s_cbranch_execnz .LBB6_76
; %bb.77:                               ;   in Loop: Header=BB6_53 Depth=1
	s_or_b64 exec, exec, s[46:47]
	buffer_load_dword v48, off, s[0:3], s33 offset:260 ; 4-byte Folded Reload
	buffer_load_dword v49, off, s[0:3], s33 offset:264 ; 4-byte Folded Reload
	;; [unrolled: 1-line block ×20, first 2 shown]
	v_ashrrev_i32_e32 v51, 31, v38
	v_mov_b32_e32 v29, 1
	v_mov_b32_e32 v34, 0xc8
	;; [unrolled: 1-line block ×4, first 2 shown]
.LBB6_78:                               ;   in Loop: Header=BB6_53 Depth=1
	s_or_b64 exec, exec, s[22:23]
	v_lshlrev_b64 v[45:46], 11, v[46:47]
	v_cmp_ne_u64_e32 vcc, v[42:43], v[45:46]
	s_and_b64 exec, exec, vcc
	s_cbranch_execz .LBB6_82
; %bb.79:                               ;   in Loop: Header=BB6_53 Depth=1
	v_add_u32_e32 v0, v40, v0
	v_and_b32_e32 v0, 0xffffffc0, v0
	v_sub_u32_e32 v0, v40, v0
	v_lshlrev_b32_e32 v1, 6, v44
	v_sub_u32_e32 v40, v0, v1
	v_ashrrev_i32_e32 v41, 31, v40
	v_add_co_u32_e32 v0, vcc, v45, v40
	v_addc_co_u32_e32 v1, vcc, v46, v41, vcc
	v_sub_co_u32_e32 v42, vcc, v42, v0
	v_subb_co_u32_e32 v43, vcc, v43, v1, vcc
	v_cmp_lt_i64_e32 vcc, 0, v[42:43]
	s_and_b64 exec, exec, vcc
	s_cbranch_execz .LBB6_82
; %bb.80:                               ;   in Loop: Header=BB6_53 Depth=1
	s_waitcnt vmcnt(0)
	v_mov_b32_e32 v2, v7
	v_mov_b32_e32 v3, v8
	buffer_load_dword v6, off, s[0:3], s33 offset:176 ; 4-byte Folded Reload
	buffer_load_dword v7, off, s[0:3], s33 offset:180 ; 4-byte Folded Reload
	buffer_load_dword v8, off, s[0:3], s33 offset:184 ; 4-byte Folded Reload
	buffer_load_dword v9, off, s[0:3], s33 offset:188 ; 4-byte Folded Reload
	buffer_load_dword v0, off, s[0:3], s33 offset:228 ; 4-byte Folded Reload
	buffer_load_dword v1, off, s[0:3], s33 offset:232 ; 4-byte Folded Reload
	s_mov_b64 s[46:47], 0
	s_waitcnt vmcnt(0)
	v_add_co_u32_e32 v8, vcc, v8, v54
	v_addc_co_u32_e32 v9, vcc, v9, v55, vcc
	v_add_co_u32_e32 v0, vcc, v0, v4
	v_addc_co_u32_e32 v1, vcc, v1, v62, vcc
	;; [unrolled: 2-line block ×6, first 2 shown]
.LBB6_81:                               ;   Parent Loop BB6_53 Depth=1
                                        ; =>  This Inner Loop Header: Depth=2
	v_add_co_u32_e32 v0, vcc, v8, v25
	v_addc_co_u32_e32 v1, vcc, v9, v33, vcc
	flat_load_ubyte v2, v[0:1] glc slc
	v_add_co_u32_e32 v0, vcc, v6, v25
	v_addc_co_u32_e32 v1, vcc, v7, v33, vcc
	v_sub_co_u32_e32 v42, vcc, v42, v30
	v_subbrev_co_u32_e32 v43, vcc, 0, v43, vcc
	v_cmp_gt_i64_e64 s[22:23], 1, v[42:43]
	v_add_co_u32_e32 v25, vcc, v25, v30
	v_addc_co_u32_e32 v33, vcc, 0, v33, vcc
	s_or_b64 s[46:47], s[22:23], s[46:47]
	s_waitcnt vmcnt(0) lgkmcnt(0)
	flat_store_byte v[0:1], v2 glc slc
	s_andn2_b64 exec, exec, s[46:47]
	s_cbranch_execnz .LBB6_81
.LBB6_82:                               ;   in Loop: Header=BB6_53 Depth=1
	s_or_b64 exec, exec, s[44:45]
	buffer_load_dword v60, off, s[0:3], s33 offset:128 ; 4-byte Folded Reload
	buffer_load_dword v8, off, s[0:3], s33 offset:216 ; 4-byte Folded Reload
	;; [unrolled: 1-line block ×5, first 2 shown]
	s_xor_b64 s[22:23], exec, -1
	v_lshlrev_b32_e32 v44, 10, v24
.LBB6_83:                               ;   in Loop: Header=BB6_53 Depth=1
	s_or_b64 exec, exec, s[42:43]
.LBB6_84:                               ;   in Loop: Header=BB6_53 Depth=1
	s_mov_b64 s[42:43], exec
	buffer_load_dword v4, off, s[0:3], s33 offset:64 ; 4-byte Folded Reload
	buffer_load_dword v5, off, s[0:3], s33 offset:68 ; 4-byte Folded Reload
	;; [unrolled: 1-line block ×4, first 2 shown]
	s_and_b64 s[22:23], s[42:43], s[22:23]
	s_mov_b64 exec, s[22:23]
	s_cbranch_execz .LBB6_614
; %bb.85:                               ;   in Loop: Header=BB6_53 Depth=1
	s_waitcnt vmcnt(0)
	v_cmp_lt_i64_e32 vcc, 0, v[18:19]
	s_and_saveexec_b64 s[44:45], vcc
	s_cbranch_execz .LBB6_613
; %bb.86:                               ;   in Loop: Header=BB6_53 Depth=1
	s_cmp_gt_u32 s26, 1
	v_mov_b32_e32 v1, 0
	s_mov_b64 s[46:47], 0
	v_mov_b32_e32 v2, 0
	s_cselect_b64 s[56:57], -1, 0
	s_branch .LBB6_89
.LBB6_87:                               ;   in Loop: Header=BB6_89 Depth=2
	s_or_b64 exec, exec, s[60:61]
.LBB6_88:                               ;   in Loop: Header=BB6_89 Depth=2
	s_or_b64 exec, exec, s[58:59]
	buffer_load_dword v8, off, s[0:3], s33 offset:216 ; 4-byte Folded Reload
	buffer_load_dword v9, off, s[0:3], s33 offset:220 ; 4-byte Folded Reload
	buffer_load_dword v1, off, s[0:3], s33 offset:176 ; 4-byte Folded Reload
	buffer_load_dword v2, off, s[0:3], s33 offset:180 ; 4-byte Folded Reload
	buffer_load_dword v10, off, s[0:3], s33 offset:112 ; 4-byte Folded Reload
	buffer_load_dword v11, off, s[0:3], s33 offset:116 ; 4-byte Folded Reload
	s_waitcnt vmcnt(0)
	v_add_co_u32_e32 v1, vcc, v1, v8
	v_addc_co_u32_e32 v2, vcc, 0, v2, vcc
	v_cmp_ge_i64_e32 vcc, v[1:2], v[18:19]
	s_or_b64 s[46:47], vcc, s[46:47]
	s_andn2_b64 exec, exec, s[46:47]
	s_cbranch_execz .LBB6_612
.LBB6_89:                               ;   Parent Loop BB6_53 Depth=1
                                        ; =>  This Loop Header: Depth=2
                                        ;       Child Loop BB6_93 Depth 3
                                        ;         Child Loop BB6_101 Depth 4
                                        ;         Child Loop BB6_125 Depth 4
                                        ;         Child Loop BB6_144 Depth 4
                                        ;         Child Loop BB6_166 Depth 4
                                        ;         Child Loop BB6_171 Depth 4
                                        ;         Child Loop BB6_179 Depth 4
                                        ;         Child Loop BB6_184 Depth 4
                                        ;         Child Loop BB6_193 Depth 4
                                        ;       Child Loop BB6_213 Depth 3
                                        ;         Child Loop BB6_219 Depth 4
                                        ;         Child Loop BB6_243 Depth 4
                                        ;       Child Loop BB6_265 Depth 3
                                        ;         Child Loop BB6_268 Depth 4
                                        ;           Child Loop BB6_276 Depth 5
                                        ;           Child Loop BB6_304 Depth 5
	;; [unrolled: 1-line block ×8, first 2 shown]
                                        ;         Child Loop BB6_393 Depth 4
                                        ;           Child Loop BB6_399 Depth 5
                                        ;           Child Loop BB6_427 Depth 5
                                        ;       Child Loop BB6_448 Depth 3
                                        ;         Child Loop BB6_456 Depth 4
                                        ;         Child Loop BB6_480 Depth 4
	;; [unrolled: 1-line block ×8, first 2 shown]
                                        ;       Child Loop BB6_567 Depth 3
                                        ;         Child Loop BB6_573 Depth 4
                                        ;         Child Loop BB6_597 Depth 4
	v_sub_co_u32_e32 v0, vcc, v18, v1
	buffer_store_dword v1, off, s[0:3], s33 offset:176 ; 4-byte Folded Spill
	s_nop 0
	buffer_store_dword v2, off, s[0:3], s33 offset:180 ; 4-byte Folded Spill
	v_mov_b32_e32 v25, 0
	v_mov_b32_e32 v37, 0
	v_subb_co_u32_e32 v1, vcc, v19, v2, vcc
	v_cmp_lt_i64_e32 vcc, v[8:9], v[0:1]
	v_cndmask_b32_e32 v50, v0, v8, vcc
	v_cndmask_b32_e64 v51, v1, 0, vcc
	v_add_u32_e32 v0, 31, v50
	v_lshrrev_b32_e32 v0, 1, v0
	v_cmp_ne_u64_e32 vcc, 0, v[50:51]
	v_and_b32_e32 v0, 0x3ffffff0, v0
	v_max_i32_e32 v52, s51, v0
	s_and_b64 s[58:59], s[40:41], vcc
	s_mov_b64 s[60:61], exec
	buffer_load_dword v8, off, s[0:3], s33 offset:196 ; 4-byte Folded Reload
	s_and_b64 s[22:23], s[60:61], s[58:59]
	s_mov_b64 exec, s[22:23]
	s_cbranch_execz .LBB6_209
; %bb.90:                               ;   in Loop: Header=BB6_89 Depth=2
	s_mov_b32 s64, 1
	s_mov_b64 s[72:73], -1
	v_mov_b32_e32 v37, 0
	s_mov_b64 s[62:63], 0
	v_mov_b32_e32 v0, v50
	buffer_store_dword v0, off, s[0:3], s33 offset:148 ; 4-byte Folded Spill
	s_nop 0
	buffer_store_dword v1, off, s[0:3], s33 offset:152 ; 4-byte Folded Spill
	s_branch .LBB6_93
.LBB6_91:                               ;   in Loop: Header=BB6_93 Depth=3
	s_or_b64 exec, exec, s[74:75]
	v_add_co_u32_e32 v31, vcc, 2, v31
	v_addc_co_u32_e32 v32, vcc, 0, v32, vcc
	flat_store_dwordx2 v[16:17], v[31:32]
.LBB6_92:                               ;   in Loop: Header=BB6_93 Depth=3
	s_or_b64 exec, exec, s[22:23]
	v_add_u32_e32 v37, v52, v37
	s_waitcnt vmcnt(0)
	v_cmp_ge_i32_e32 vcc, v37, v50
	s_xor_b64 s[22:23], s[72:73], -1
	s_or_b64 s[22:23], s[22:23], vcc
	s_and_b64 s[22:23], exec, s[22:23]
	s_or_b64 s[62:63], s[22:23], s[62:63]
	s_mov_b64 s[72:73], 0
	v_mov_b32_e32 v25, s64
	s_mov_b32 s64, 2
	s_andn2_b64 exec, exec, s[62:63]
	s_cbranch_execz .LBB6_259
.LBB6_93:                               ;   Parent Loop BB6_53 Depth=1
                                        ;     Parent Loop BB6_89 Depth=2
                                        ; =>    This Loop Header: Depth=3
                                        ;         Child Loop BB6_101 Depth 4
                                        ;         Child Loop BB6_125 Depth 4
	;; [unrolled: 1-line block ×8, first 2 shown]
	s_and_saveexec_b64 s[22:23], s[4:5]
	s_cbranch_execz .LBB6_95
; %bb.94:                               ;   in Loop: Header=BB6_93 Depth=3
	s_trap 2
	buffer_load_dword v2, off, s[0:3], s33 offset:192 ; 4-byte Folded Reload
	ds_read_b64 v[0:1], v0
	v_mov_b32_e32 v13, v12
	s_waitcnt vmcnt(0) lgkmcnt(0)
	v_add_co_u32_e32 v0, vcc, v0, v2
	buffer_load_dword v2, off, s[0:3], s33 offset:176 ; 4-byte Folded Reload
	buffer_load_dword v3, off, s[0:3], s33 offset:180 ; 4-byte Folded Reload
	v_addc_co_u32_e32 v1, vcc, v1, v8, vcc
	s_waitcnt vmcnt(1)
	v_add_co_u32_e32 v0, vcc, v0, v2
	s_waitcnt vmcnt(0)
	v_addc_co_u32_e32 v1, vcc, v1, v3, vcc
	v_ashrrev_i32_e32 v2, 31, v37
	v_add_co_u32_e32 v0, vcc, v0, v37
	v_addc_co_u32_e32 v1, vcc, v1, v2, vcc
	ds_write_b64 v0, v[0:1]
	ds_write_b64 v0, v[12:13]
.LBB6_95:                               ;   in Loop: Header=BB6_93 Depth=3
	s_or_b64 exec, exec, s[22:23]
	v_sub_u32_e32 v0, v50, v37
	v_min_i32_e32 v52, v52, v0
	v_and_b32_e32 v0, 8, v39
	v_cmp_ne_u32_e32 vcc, 0, v0
	s_and_saveexec_b64 s[74:75], vcc
	s_cbranch_execz .LBB6_117
; %bb.96:                               ;   in Loop: Header=BB6_93 Depth=3
	v_add_co_u32_e32 v0, vcc, 8, v22
	v_addc_co_u32_e32 v1, vcc, 0, v23, vcc
	v_add_co_u32_e32 v54, vcc, 2, v31
	v_addc_co_u32_e32 v55, vcc, 0, v32, vcc
	v_cmp_lt_u64_e32 vcc, v[0:1], v[54:55]
	s_and_saveexec_b64 s[76:77], vcc
	s_cbranch_execz .LBB6_108
; %bb.97:                               ;   in Loop: Header=BB6_93 Depth=3
	v_and_b32_e32 v0, 64, v39
	s_mov_b32 s65, 0
	v_cmp_eq_u32_e32 vcc, 0, v0
	s_mov_b64 s[78:79], 0
                                        ; implicit-def: $sgpr88_sgpr89
                                        ; implicit-def: $sgpr90_sgpr91
                                        ; implicit-def: $sgpr92_sgpr93
	s_branch .LBB6_101
.LBB6_98:                               ;   in Loop: Header=BB6_101 Depth=4
	s_waitcnt vmcnt(0) lgkmcnt(0)
	v_add_co_u32_e64 v0, s[22:23], 8, v22
	v_addc_co_u32_e64 v1, s[22:23], 0, v23, s[22:23]
	v_cmp_ge_u64_e64 s[22:23], v[0:1], v[54:55]
	s_or_b64 s[34:35], s[34:35], exec
	s_orn2_b64 s[30:31], s[22:23], exec
.LBB6_99:                               ;   in Loop: Header=BB6_101 Depth=4
	s_or_b64 exec, exec, s[38:39]
	s_andn2_b64 s[22:23], s[92:93], exec
	s_and_b64 s[92:93], s[34:35], exec
	s_or_b64 s[92:93], s[22:23], s[92:93]
	s_andn2_b64 s[22:23], s[90:91], exec
	s_and_b64 s[90:91], s[30:31], exec
	s_or_b64 s[90:91], s[22:23], s[90:91]
.LBB6_100:                              ;   in Loop: Header=BB6_101 Depth=4
	s_or_b64 exec, exec, s[94:95]
	s_and_b64 s[22:23], exec, s[90:91]
	s_or_b64 s[78:79], s[22:23], s[78:79]
	s_andn2_b64 s[22:23], s[88:89], exec
	s_and_b64 s[88:89], s[92:93], exec
	s_or_b64 s[88:89], s[22:23], s[88:89]
	s_andn2_b64 exec, exec, s[78:79]
	s_cbranch_execz .LBB6_105
.LBB6_101:                              ;   Parent Loop BB6_53 Depth=1
                                        ;     Parent Loop BB6_89 Depth=2
                                        ;       Parent Loop BB6_93 Depth=3
                                        ; =>      This Inner Loop Header: Depth=4
	s_sleep 1
	s_waitcnt vmcnt(0) lgkmcnt(0)
	flat_load_dwordx2 v[22:23], v[16:17] glc
	s_or_b64 s[92:93], s[92:93], exec
	s_or_b64 s[90:91], s[90:91], exec
                                        ; implicit-def: $vgpr25
	s_and_saveexec_b64 s[94:95], vcc
	s_cbranch_execz .LBB6_100
; %bb.102:                              ;   in Loop: Header=BB6_101 Depth=4
	s_cmpk_lt_i32 s65, 0x270f
	s_cselect_b64 s[36:37], -1, 0
	s_cmpk_gt_i32 s65, 0x270e
	s_mov_b64 s[30:31], -1
	s_cbranch_scc0 .LBB6_104
; %bb.103:                              ;   in Loop: Header=BB6_101 Depth=4
	s_trap 2
	ds_read_b64 v[0:1], v0
	s_andn2_b64 s[36:37], s[36:37], exec
	s_mov_b32 s65, 0
	s_mov_b64 s[34:35], 0
	s_waitcnt vmcnt(0) lgkmcnt(0)
	flat_load_dword v25, v[0:1] glc
	s_waitcnt vmcnt(0) lgkmcnt(0)
	buffer_wbinvl1_vol
	v_cmp_eq_u32_e64 s[22:23], 0, v25
	s_and_b64 s[22:23], s[22:23], exec
	s_or_b64 s[36:37], s[36:37], s[22:23]
	s_and_saveexec_b64 s[38:39], s[36:37]
	s_cbranch_execz .LBB6_99
	s_branch .LBB6_98
.LBB6_104:                              ;   in Loop: Header=BB6_101 Depth=4
	s_add_i32 s65, s65, 1
	s_mov_b64 s[34:35], -1
                                        ; implicit-def: $vgpr25
	s_and_saveexec_b64 s[38:39], s[36:37]
	s_cbranch_execz .LBB6_99
	s_branch .LBB6_98
.LBB6_105:                              ;   in Loop: Header=BB6_93 Depth=3
	s_or_b64 exec, exec, s[78:79]
	s_xor_b64 s[22:23], s[88:89], -1
	s_and_saveexec_b64 s[78:79], s[22:23]
	s_xor_b64 s[22:23], exec, s[78:79]
	s_cbranch_execz .LBB6_107
; %bb.106:                              ;   in Loop: Header=BB6_93 Depth=3
	v_or_b32_e32 v39, 64, v39
	s_waitcnt lgkmcnt(0)
	ds_write_b32 v0, v25
	s_trap 2
.LBB6_107:                              ;   in Loop: Header=BB6_93 Depth=3
	s_or_b64 exec, exec, s[22:23]
.LBB6_108:                              ;   in Loop: Header=BB6_93 Depth=3
	s_or_b64 exec, exec, s[76:77]
	v_and_b32_e32 v0, 0x100, v39
	v_cmp_ne_u32_e32 vcc, 0, v0
	v_and_b32_e32 v25, 7, v31
	s_mov_b64 s[22:23], -1
	;;#ASMSTART
	s_wakeup
	;;#ASMEND
                                        ; implicit-def: $vgpr48_vgpr49
	s_and_saveexec_b64 s[76:77], vcc
	s_cbranch_execz .LBB6_112
; %bb.109:                              ;   in Loop: Header=BB6_93 Depth=3
	v_mad_u64_u32 v[40:41], s[22:23], v25, 24, v[4:5]
	v_ashrrev_i32_e32 v53, 31, v52
                                        ; implicit-def: $vgpr48_vgpr49
	flat_load_dword v0, v[40:41]
	s_nop 0
	flat_store_dwordx2 v[40:41], v[52:53] offset:8
	s_waitcnt vmcnt(0) lgkmcnt(0)
	v_cmp_ne_u32_e32 vcc, 1, v0
	v_cmp_eq_u32_e64 s[22:23], 1, v0
	s_and_saveexec_b64 s[78:79], s[22:23]
	s_cbranch_execz .LBB6_111
; %bb.110:                              ;   in Loop: Header=BB6_93 Depth=3
	flat_load_dword v48, v[40:41] offset:4 glc
	s_waitcnt vmcnt(0) lgkmcnt(0)
	v_ashrrev_i32_e32 v49, 31, v48
.LBB6_111:                              ;   in Loop: Header=BB6_93 Depth=3
	s_or_b64 exec, exec, s[78:79]
	s_orn2_b64 s[22:23], vcc, exec
.LBB6_112:                              ;   in Loop: Header=BB6_93 Depth=3
	s_or_b64 exec, exec, s[76:77]
	s_and_saveexec_b64 s[76:77], s[22:23]
; %bb.113:                              ;   in Loop: Header=BB6_93 Depth=3
	v_mad_i64_i32 v[48:49], s[22:23], v25, v60, 0
; %bb.114:                              ;   in Loop: Header=BB6_93 Depth=3
	s_or_b64 exec, exec, s[76:77]
	v_add_co_u32_e32 v0, vcc, v14, v48
	v_addc_co_u32_e32 v1, vcc, v15, v49, vcc
	ds_write_b64 v0, v[0:1] offset:784
	v_and_b32_e32 v0, 0x2000, v39
	v_cmp_ne_u32_e32 vcc, 0, v0
	s_and_saveexec_b64 s[22:23], vcc
	s_cbranch_execz .LBB6_116
; %bb.115:                              ;   in Loop: Header=BB6_93 Depth=3
	ds_read_b64 v[0:1], v0 offset:872
	s_waitcnt lgkmcnt(0)
	v_add_co_u32_e32 v0, vcc, 1, v0
	v_addc_co_u32_e32 v1, vcc, 0, v1, vcc
	ds_write_b64 v0, v[0:1] offset:872
.LBB6_116:                              ;   in Loop: Header=BB6_93 Depth=3
	s_or_b64 exec, exec, s[22:23]
	v_mov_b32_e32 v31, v54
	v_mov_b32_e32 v32, v55
.LBB6_117:                              ;   in Loop: Header=BB6_93 Depth=3
	s_or_b64 exec, exec, s[74:75]
	s_and_saveexec_b64 s[22:23], s[6:7]
	s_cbranch_execz .LBB6_136
; %bb.118:                              ;   in Loop: Header=BB6_93 Depth=3
	s_and_saveexec_b64 s[74:75], s[28:29]
	s_xor_b64 s[74:75], exec, s[74:75]
	s_cbranch_execz .LBB6_133
; %bb.119:                              ;   in Loop: Header=BB6_93 Depth=3
	s_and_saveexec_b64 s[76:77], s[12:13]
	s_cbranch_execz .LBB6_132
; %bb.120:                              ;   in Loop: Header=BB6_93 Depth=3
	s_mov_b64 s[88:89], exec
	v_mbcnt_lo_u32_b32 v0, s88, 0
	v_mbcnt_hi_u32_b32 v0, s89, v0
	v_cmp_eq_u32_e32 vcc, 0, v0
	s_waitcnt vmcnt(0) lgkmcnt(0)
	buffer_wbinvl1_vol
	s_and_saveexec_b64 s[78:79], vcc
	s_cbranch_execz .LBB6_122
; %bb.121:                              ;   in Loop: Header=BB6_93 Depth=3
	s_bcnt1_i32_b64 s88, s[88:89]
	v_mov_b32_e32 v0, s88
	v_mov_b32_e32 v1, v12
	ds_add_u64 v0, v[0:1]
	s_trap 2
.LBB6_122:                              ;   in Loop: Header=BB6_93 Depth=3
	s_or_b64 exec, exec, s[78:79]
	s_trap 2
	ds_read_b64 v[0:1], v0
	s_waitcnt lgkmcnt(0)
	v_add_co_u32_e32 v20, vcc, v20, v24
	v_addc_co_u32_e32 v21, vcc, 0, v21, vcc
	v_cmp_lt_u64_e32 vcc, v[0:1], v[20:21]
	s_and_saveexec_b64 s[78:79], vcc
	s_cbranch_execz .LBB6_131
; %bb.123:                              ;   in Loop: Header=BB6_93 Depth=3
	s_mov_b32 s34, 0
	s_mov_b64 s[88:89], 0
                                        ; implicit-def: $sgpr90_sgpr91
                                        ; implicit-def: $sgpr92_sgpr93
	s_branch .LBB6_125
.LBB6_124:                              ;   in Loop: Header=BB6_125 Depth=4
	s_or_b64 exec, exec, s[30:31]
	s_and_b64 s[94:95], exec, vcc
	s_or_b64 s[88:89], s[94:95], s[88:89]
	s_andn2_b64 s[90:91], s[90:91], exec
	s_and_b64 s[94:95], s[92:93], exec
	s_or_b64 s[90:91], s[90:91], s[94:95]
	s_andn2_b64 exec, exec, s[88:89]
	s_cbranch_execz .LBB6_129
.LBB6_125:                              ;   Parent Loop BB6_53 Depth=1
                                        ;     Parent Loop BB6_89 Depth=2
                                        ;       Parent Loop BB6_93 Depth=3
                                        ; =>      This Inner Loop Header: Depth=4
	s_add_i32 s34, s34, 1
	s_cmpk_lg_i32 s34, 0x2710
	s_cselect_b64 s[94:95], -1, 0
	s_and_b64 vcc, exec, s[94:95]
	s_cbranch_vccz .LBB6_127
; %bb.126:                              ;   in Loop: Header=BB6_125 Depth=4
	s_mov_b64 vcc, -1
	s_or_b64 s[92:93], s[92:93], exec
	s_and_saveexec_b64 s[30:31], s[94:95]
	s_cbranch_execz .LBB6_124
	s_branch .LBB6_128
.LBB6_127:                              ;   in Loop: Header=BB6_125 Depth=4
	s_trap 2
	ds_read_b64 v[0:1], v0
	s_andn2_b64 s[94:95], s[94:95], exec
	s_mov_b32 s34, 0
	s_waitcnt lgkmcnt(0)
	flat_load_dword v0, v[0:1] glc
	s_waitcnt vmcnt(0) lgkmcnt(0)
	buffer_wbinvl1_vol
	v_cmp_eq_u32_e32 vcc, 0, v0
	s_and_b64 vcc, vcc, exec
	s_or_b64 s[94:95], s[94:95], vcc
	s_mov_b64 vcc, -1
	s_or_b64 s[92:93], s[92:93], exec
	s_and_saveexec_b64 s[30:31], s[94:95]
	s_cbranch_execz .LBB6_124
.LBB6_128:                              ;   in Loop: Header=BB6_125 Depth=4
	s_sleep 1
	s_trap 2
	ds_read_b64 v[0:1], v0
	s_waitcnt lgkmcnt(0)
	s_andn2_b64 s[92:93], s[92:93], exec
	v_cmp_ge_u64_e32 vcc, v[0:1], v[20:21]
	s_orn2_b64 vcc, vcc, exec
	s_branch .LBB6_124
.LBB6_129:                              ;   in Loop: Header=BB6_93 Depth=3
	s_or_b64 exec, exec, s[88:89]
	s_and_saveexec_b64 s[88:89], s[90:91]
	s_xor_b64 s[88:89], exec, s[88:89]
	s_cbranch_execz .LBB6_131
; %bb.130:                              ;   in Loop: Header=BB6_93 Depth=3
	ds_write_b32 v0, v29
	s_trap 2
.LBB6_131:                              ;   in Loop: Header=BB6_93 Depth=3
	s_or_b64 exec, exec, s[78:79]
	;;#ASMSTART
	s_wakeup
	;;#ASMEND
.LBB6_132:                              ;   in Loop: Header=BB6_93 Depth=3
	s_or_b64 exec, exec, s[76:77]
.LBB6_133:                              ;   in Loop: Header=BB6_93 Depth=3
	s_andn2_saveexec_b64 s[74:75], s[74:75]
	s_cbranch_execz .LBB6_135
; %bb.134:                              ;   in Loop: Header=BB6_93 Depth=3
	s_waitcnt vmcnt(0) lgkmcnt(0)
	buffer_wbinvl1_vol
	s_barrier
.LBB6_135:                              ;   in Loop: Header=BB6_93 Depth=3
	s_or_b64 exec, exec, s[74:75]
.LBB6_136:                              ;   in Loop: Header=BB6_93 Depth=3
	s_or_b64 exec, exec, s[22:23]
	s_trap 2
	ds_read_b32 v25, v0
	v_and_b32_e32 v0, 0x4000, v39
	v_cmp_ne_u32_e32 vcc, 0, v0
	s_xor_b64 s[22:23], s[16:17], -1
	s_and_b64 s[74:75], s[22:23], vcc
	s_and_saveexec_b64 s[22:23], s[74:75]
	s_cbranch_execz .LBB6_155
; %bb.137:                              ;   in Loop: Header=BB6_93 Depth=3
	s_and_saveexec_b64 s[74:75], s[28:29]
	s_xor_b64 s[74:75], exec, s[74:75]
	s_cbranch_execz .LBB6_152
; %bb.138:                              ;   in Loop: Header=BB6_93 Depth=3
	s_and_saveexec_b64 s[76:77], s[12:13]
	s_cbranch_execz .LBB6_151
; %bb.139:                              ;   in Loop: Header=BB6_93 Depth=3
	s_mov_b64 s[88:89], exec
	v_mbcnt_lo_u32_b32 v0, s88, 0
	v_mbcnt_hi_u32_b32 v0, s89, v0
	v_cmp_eq_u32_e32 vcc, 0, v0
	s_waitcnt vmcnt(0) lgkmcnt(0)
	buffer_wbinvl1_vol
	s_and_saveexec_b64 s[78:79], vcc
	s_cbranch_execz .LBB6_141
; %bb.140:                              ;   in Loop: Header=BB6_93 Depth=3
	s_bcnt1_i32_b64 s88, s[88:89]
	v_mov_b32_e32 v0, s88
	v_mov_b32_e32 v1, v12
	ds_add_u64 v0, v[0:1]
	s_trap 2
.LBB6_141:                              ;   in Loop: Header=BB6_93 Depth=3
	s_or_b64 exec, exec, s[78:79]
	s_trap 2
	ds_read_b64 v[0:1], v0
	s_waitcnt lgkmcnt(0)
	v_add_co_u32_e32 v20, vcc, v20, v24
	v_addc_co_u32_e32 v21, vcc, 0, v21, vcc
	v_cmp_lt_u64_e32 vcc, v[0:1], v[20:21]
	s_and_saveexec_b64 s[78:79], vcc
	s_cbranch_execz .LBB6_150
; %bb.142:                              ;   in Loop: Header=BB6_93 Depth=3
	s_mov_b32 s34, 0
	s_mov_b64 s[88:89], 0
                                        ; implicit-def: $sgpr90_sgpr91
                                        ; implicit-def: $sgpr92_sgpr93
	s_branch .LBB6_144
.LBB6_143:                              ;   in Loop: Header=BB6_144 Depth=4
	s_or_b64 exec, exec, s[30:31]
	s_and_b64 s[94:95], exec, vcc
	s_or_b64 s[88:89], s[94:95], s[88:89]
	s_andn2_b64 s[90:91], s[90:91], exec
	s_and_b64 s[94:95], s[92:93], exec
	s_or_b64 s[90:91], s[90:91], s[94:95]
	s_andn2_b64 exec, exec, s[88:89]
	s_cbranch_execz .LBB6_148
.LBB6_144:                              ;   Parent Loop BB6_53 Depth=1
                                        ;     Parent Loop BB6_89 Depth=2
                                        ;       Parent Loop BB6_93 Depth=3
                                        ; =>      This Inner Loop Header: Depth=4
	s_add_i32 s34, s34, 1
	s_cmpk_lg_i32 s34, 0x2710
	s_cselect_b64 s[94:95], -1, 0
	s_and_b64 vcc, exec, s[94:95]
	s_cbranch_vccz .LBB6_146
; %bb.145:                              ;   in Loop: Header=BB6_144 Depth=4
	s_mov_b64 vcc, -1
	s_or_b64 s[92:93], s[92:93], exec
	s_and_saveexec_b64 s[30:31], s[94:95]
	s_cbranch_execz .LBB6_143
	s_branch .LBB6_147
.LBB6_146:                              ;   in Loop: Header=BB6_144 Depth=4
	s_trap 2
	ds_read_b64 v[0:1], v0
	s_andn2_b64 s[94:95], s[94:95], exec
	s_mov_b32 s34, 0
	s_waitcnt lgkmcnt(0)
	flat_load_dword v0, v[0:1] glc
	s_waitcnt vmcnt(0) lgkmcnt(0)
	buffer_wbinvl1_vol
	v_cmp_eq_u32_e32 vcc, 0, v0
	s_and_b64 vcc, vcc, exec
	s_or_b64 s[94:95], s[94:95], vcc
	s_mov_b64 vcc, -1
	s_or_b64 s[92:93], s[92:93], exec
	s_and_saveexec_b64 s[30:31], s[94:95]
	s_cbranch_execz .LBB6_143
.LBB6_147:                              ;   in Loop: Header=BB6_144 Depth=4
	s_sleep 1
	s_trap 2
	ds_read_b64 v[0:1], v0
	s_waitcnt lgkmcnt(0)
	s_andn2_b64 s[92:93], s[92:93], exec
	v_cmp_ge_u64_e32 vcc, v[0:1], v[20:21]
	s_orn2_b64 vcc, vcc, exec
	s_branch .LBB6_143
.LBB6_148:                              ;   in Loop: Header=BB6_93 Depth=3
	s_or_b64 exec, exec, s[88:89]
	s_and_saveexec_b64 s[88:89], s[90:91]
	s_xor_b64 s[88:89], exec, s[88:89]
	s_cbranch_execz .LBB6_150
; %bb.149:                              ;   in Loop: Header=BB6_93 Depth=3
	ds_write_b32 v0, v29
	s_trap 2
.LBB6_150:                              ;   in Loop: Header=BB6_93 Depth=3
	s_or_b64 exec, exec, s[78:79]
	;;#ASMSTART
	s_wakeup
	;;#ASMEND
.LBB6_151:                              ;   in Loop: Header=BB6_93 Depth=3
	s_or_b64 exec, exec, s[76:77]
.LBB6_152:                              ;   in Loop: Header=BB6_93 Depth=3
	s_andn2_saveexec_b64 s[74:75], s[74:75]
	s_cbranch_execz .LBB6_154
; %bb.153:                              ;   in Loop: Header=BB6_93 Depth=3
	s_waitcnt vmcnt(0) lgkmcnt(0)
	buffer_wbinvl1_vol
	s_barrier
.LBB6_154:                              ;   in Loop: Header=BB6_93 Depth=3
	s_or_b64 exec, exec, s[74:75]
.LBB6_155:                              ;   in Loop: Header=BB6_93 Depth=3
	s_or_b64 exec, exec, s[22:23]
	s_trap 2
	ds_read_b64 v[53:54], v0
	s_waitcnt lgkmcnt(0)
	v_cmp_eq_u64_e32 vcc, 0, v[53:54]
	s_cbranch_vccnz .LBB6_163
; %bb.156:                              ;   in Loop: Header=BB6_93 Depth=3
	s_trap 2
	ds_read_b64 v[40:41], v0
	s_waitcnt lgkmcnt(0)
	v_cmp_eq_u64_e32 vcc, 0, v[40:41]
	s_cbranch_vccnz .LBB6_163
; %bb.157:                              ;   in Loop: Header=BB6_93 Depth=3
	s_mov_b64 s[22:23], -1
	s_and_saveexec_b64 s[74:75], s[10:11]
	s_cbranch_execz .LBB6_159
; %bb.158:                              ;   in Loop: Header=BB6_93 Depth=3
	ds_read_b32 v0, v0 offset:720
	s_waitcnt lgkmcnt(0)
	v_and_b32_e32 v0, 15, v0
	v_cmp_eq_u32_e32 vcc, 0, v0
	s_orn2_b64 s[22:23], vcc, exec
.LBB6_159:                              ;   in Loop: Header=BB6_93 Depth=3
	s_or_b64 exec, exec, s[74:75]
	s_and_saveexec_b64 s[74:75], s[14:15]
	s_cbranch_execz .LBB6_161
; %bb.160:                              ;   in Loop: Header=BB6_93 Depth=3
	ds_read_b32 v0, v0 offset:784
	s_waitcnt lgkmcnt(0)
	v_and_b32_e32 v0, 15, v0
	v_cmp_eq_u32_e32 vcc, 0, v0
	s_and_b64 s[76:77], s[22:23], vcc
	s_andn2_b64 s[22:23], s[22:23], exec
	s_and_b64 s[76:77], s[76:77], exec
	s_or_b64 s[22:23], s[22:23], s[76:77]
.LBB6_161:                              ;   in Loop: Header=BB6_93 Depth=3
	s_or_b64 exec, exec, s[74:75]
	buffer_load_dword v42, off, s[0:3], s33 offset:60 ; 4-byte Folded Reload
	v_cmp_eq_u32_e32 vcc, 0, v25
	s_xor_b64 s[22:23], s[22:23], -1
	v_cndmask_b32_e32 v25, 0, v52, vcc
	v_cndmask_b32_e64 v0, 0, 1, s[22:23]
	s_mov_b64 s[76:77], -1
	v_cmp_ne_u32_e32 vcc, 0, v0
	v_mov_b32_e32 v33, 0
	v_mov_b32_e32 v55, v25
	;; [unrolled: 1-line block ×3, first 2 shown]
	s_cbranch_vccz .LBB6_164
; %bb.162:                              ;   in Loop: Header=BB6_93 Depth=3
	s_and_saveexec_b64 s[22:23], s[76:77]
	s_cbranch_execnz .LBB6_177
	s_branch .LBB6_185
.LBB6_163:                              ;   in Loop: Header=BB6_93 Depth=3
	s_mov_b64 s[22:23], 0
	s_and_saveexec_b64 s[74:75], s[6:7]
	s_cbranch_execnz .LBB6_186
	s_branch .LBB6_204
.LBB6_164:                              ;   in Loop: Header=BB6_93 Depth=3
	v_ashrrev_i32_e32 v0, 31, v25
	v_lshrrev_b32_e32 v0, 19, v0
	v_add_u32_e32 v0, v25, v0
	v_ashrrev_i32_e32 v47, 13, v0
	v_sub_u32_e32 v46, v47, v27
	v_cmp_lt_i32_e32 vcc, 0, v46
	s_and_saveexec_b64 s[74:75], vcc
	s_cbranch_execz .LBB6_168
; %bb.165:                              ;   in Loop: Header=BB6_93 Depth=3
	s_waitcnt vmcnt(0)
	v_mov_b32_e32 v43, v41
	v_mov_b32_e32 v44, v53
	s_mov_b64 s[76:77], 0
	v_mov_b32_e32 v42, v40
	v_mov_b32_e32 v45, v54
	v_ashrrev_i32_e32 v50, 31, v38
	v_lshlrev_b32_e32 v51, 13, v24
	buffer_store_dword v12, off, s[0:3], s33 offset:80 ; 4-byte Folded Spill
	s_nop 0
	buffer_store_dword v13, off, s[0:3], s33 offset:84 ; 4-byte Folded Spill
	buffer_store_dword v20, off, s[0:3], s33 offset:132 ; 4-byte Folded Spill
	s_nop 0
	buffer_store_dword v21, off, s[0:3], s33 offset:136 ; 4-byte Folded Spill
.LBB6_166:                              ;   Parent Loop BB6_53 Depth=1
                                        ;     Parent Loop BB6_89 Depth=2
                                        ;       Parent Loop BB6_93 Depth=3
                                        ; =>      This Inner Loop Header: Depth=4
	v_add_co_u32_e32 v0, vcc, v38, v44
	v_addc_co_u32_e32 v1, vcc, v50, v45, vcc
	v_add_co_u32_e32 v8, vcc, s54, v0
	v_addc_co_u32_e32 v9, vcc, 0, v1, vcc
	global_load_dwordx4 v[27:30], v[0:1], off glc slc
	global_load_dwordx4 v[55:58], v[0:1], off offset:1024 glc slc
	global_load_dwordx4 v[59:62], v[0:1], off offset:2048 glc slc
	;; [unrolled: 1-line block ×3, first 2 shown]
	global_load_dwordx4 v[33:36], v[8:9], off glc slc
	global_load_dwordx4 v[18:21], v[8:9], off offset:1024 glc slc
	s_nop 0
	global_load_dwordx4 v[0:3], v[8:9], off offset:2048 glc slc
	s_nop 0
	global_load_dwordx4 v[8:11], v[8:9], off offset:3072 glc slc
	v_add_co_u32_e32 v12, vcc, v38, v42
	v_addc_co_u32_e32 v13, vcc, v50, v43, vcc
	v_add_co_u32_e32 v44, vcc, v44, v51
	v_addc_co_u32_e32 v45, vcc, 0, v45, vcc
	v_sub_u32_e32 v46, v46, v24
	v_add_co_u32_e32 v42, vcc, v42, v51
	v_addc_co_u32_e32 v43, vcc, 0, v43, vcc
	v_cmp_gt_i32_e64 s[22:23], 1, v46
	v_add_co_u32_e32 v48, vcc, s54, v12
	s_or_b64 s[76:77], s[22:23], s[76:77]
	v_addc_co_u32_e32 v49, vcc, 0, v13, vcc
	s_waitcnt vmcnt(7)
	global_store_dwordx4 v[12:13], v[27:30], off glc slc
	s_waitcnt vmcnt(7)
	global_store_dwordx4 v[12:13], v[55:58], off offset:1024 glc slc
	s_waitcnt vmcnt(7)
	global_store_dwordx4 v[12:13], v[59:62], off offset:2048 glc slc
	;; [unrolled: 2-line block ×3, first 2 shown]
	s_waitcnt vmcnt(7)
	global_store_dwordx4 v[48:49], v[33:36], off glc slc
	s_waitcnt vmcnt(7)
	global_store_dwordx4 v[48:49], v[18:21], off offset:1024 glc slc
	s_waitcnt vmcnt(7)
	global_store_dwordx4 v[48:49], v[0:3], off offset:2048 glc slc
	;; [unrolled: 2-line block ×3, first 2 shown]
	s_andn2_b64 exec, exec, s[76:77]
	s_cbranch_execnz .LBB6_166
; %bb.167:                              ;   in Loop: Header=BB6_93 Depth=3
	s_or_b64 exec, exec, s[76:77]
	buffer_load_dword v4, off, s[0:3], s33 offset:64 ; 4-byte Folded Reload
	buffer_load_dword v5, off, s[0:3], s33 offset:68 ; 4-byte Folded Reload
	;; [unrolled: 1-line block ×18, first 2 shown]
	v_mov_b32_e32 v29, 1
	v_mov_b32_e32 v34, 0xc8
	;; [unrolled: 1-line block ×3, first 2 shown]
.LBB6_168:                              ;   in Loop: Header=BB6_93 Depth=3
	s_or_b64 exec, exec, s[74:75]
	v_lshlrev_b32_e32 v43, 13, v47
	v_cmp_ne_u32_e32 vcc, v25, v43
	s_mov_b64 s[76:77], 0
	v_mov_b32_e32 v33, 0
                                        ; implicit-def: $vgpr55
                                        ; implicit-def: $vgpr42
                                        ; implicit-def: $vgpr47
	s_and_saveexec_b64 s[74:75], vcc
	s_cbranch_execz .LBB6_176
; %bb.169:                              ;   in Loop: Header=BB6_93 Depth=3
	buffer_load_dword v2, off, s[0:3], s33 offset:164 ; 4-byte Folded Reload
	v_lshlrev_b32_e32 v1, 6, v46
	v_sub_u32_e32 v0, v25, v43
	s_waitcnt vmcnt(0)
	v_sub_u32_e32 v1, v2, v1
	v_ashrrev_i32_e32 v2, 31, v1
	v_lshrrev_b32_e32 v2, 26, v2
	v_add_u32_e32 v2, v1, v2
	v_ashrrev_i32_e32 v3, 6, v2
	v_and_b32_e32 v2, 0xffffffc0, v2
	v_sub_u32_e32 v44, v1, v2
	v_lshlrev_b32_e32 v1, 4, v44
	v_lshl_add_u32 v55, v3, 10, v1
	v_ashrrev_i32_e32 v1, 31, v0
	v_lshrrev_b32_e32 v1, 22, v1
	v_add_u32_e32 v1, v0, v1
	v_and_b32_e32 v45, 0xfffffc00, v1
	v_sub_u32_e32 v56, v0, v45
	v_ashrrev_i32_e32 v2, 10, v1
	v_cmp_lt_i32_e32 vcc, 15, v56
	v_sub_u32_e32 v33, v0, v55
	v_addc_co_u32_e64 v0, s[22:23], 0, v2, vcc
	v_sub_u32_e32 v46, v0, v3
	v_cmp_lt_i32_e64 s[22:23], 15, v33
	s_and_saveexec_b64 s[76:77], s[22:23]
	s_cbranch_execz .LBB6_173
; %bb.170:                              ;   in Loop: Header=BB6_93 Depth=3
	v_add_u32_e32 v55, v55, v43
	v_ashrrev_i32_e32 v42, 31, v55
	s_mov_b64 s[78:79], 0
	v_lshlrev_b32_e32 v6, 10, v24
.LBB6_171:                              ;   Parent Loop BB6_53 Depth=1
                                        ;     Parent Loop BB6_89 Depth=2
                                        ;       Parent Loop BB6_93 Depth=3
                                        ; =>      This Inner Loop Header: Depth=4
	v_add_co_u32_e64 v0, s[22:23], v53, v55
	v_addc_co_u32_e64 v1, s[22:23], v54, v42, s[22:23]
	global_load_dwordx4 v[0:3], v[0:1], off glc slc
	v_add_co_u32_e64 v4, s[22:23], v40, v55
	v_addc_co_u32_e64 v5, s[22:23], v41, v42, s[22:23]
	v_add_co_u32_e64 v55, s[22:23], v55, v6
	v_sub_u32_e32 v33, v33, v6
	v_addc_co_u32_e64 v42, s[22:23], 0, v42, s[22:23]
	v_cmp_gt_i32_e64 s[22:23], 16, v33
	v_sub_u32_e32 v46, v46, v24
	s_or_b64 s[78:79], s[22:23], s[78:79]
	s_waitcnt vmcnt(0)
	global_store_dwordx4 v[4:5], v[0:3], off glc slc
	s_andn2_b64 exec, exec, s[78:79]
	s_cbranch_execnz .LBB6_171
; %bb.172:                              ;   in Loop: Header=BB6_93 Depth=3
	s_or_b64 exec, exec, s[78:79]
	buffer_load_dword v4, off, s[0:3], s33 offset:64 ; 4-byte Folded Reload
	buffer_load_dword v5, off, s[0:3], s33 offset:68 ; 4-byte Folded Reload
	;; [unrolled: 1-line block ×4, first 2 shown]
.LBB6_173:                              ;   in Loop: Header=BB6_93 Depth=3
	s_or_b64 exec, exec, s[76:77]
	v_and_b32_e32 v57, 15, v25
	v_cndmask_b32_e32 v55, v56, v57, vcc
	v_mov_b32_e32 v33, 0
	v_cmp_ne_u32_e64 s[22:23], 0, v55
	s_mov_b64 s[78:79], 0
                                        ; implicit-def: $vgpr42
                                        ; implicit-def: $vgpr47
	s_and_saveexec_b64 s[76:77], s[22:23]
	s_cbranch_execz .LBB6_175
; %bb.174:                              ;   in Loop: Header=BB6_93 Depth=3
	v_sub_u32_e32 v0, v56, v57
	v_cndmask_b32_e32 v0, 0, v0, vcc
	v_cmp_lt_i32_e32 vcc, 0, v46
	v_add3_u32 v33, v45, v43, v0
	v_cndmask_b32_e32 v0, 0, v24, vcc
	v_sub_u32_e32 v0, v0, v46
	v_lshl_add_u32 v42, v0, 6, v44
	v_ashrrev_i32_e32 v0, 31, v42
	v_lshrrev_b32_e32 v0, 26, v0
	v_add_u32_e32 v0, v42, v0
	v_ashrrev_i32_e32 v47, 6, v0
	s_mov_b64 s[78:79], exec
.LBB6_175:                              ;   in Loop: Header=BB6_93 Depth=3
	s_or_b64 exec, exec, s[76:77]
	s_and_b64 s[76:77], s[78:79], exec
.LBB6_176:                              ;   in Loop: Header=BB6_93 Depth=3
	s_or_b64 exec, exec, s[74:75]
	buffer_load_dword v18, off, s[0:3], s33 offset:168 ; 4-byte Folded Reload
	buffer_load_dword v19, off, s[0:3], s33 offset:172 ; 4-byte Folded Reload
	s_and_saveexec_b64 s[22:23], s[76:77]
	s_cbranch_execz .LBB6_185
.LBB6_177:                              ;   in Loop: Header=BB6_93 Depth=3
	v_ashrrev_i32_e32 v0, 31, v55
	v_lshrrev_b32_e32 v0, 21, v0
	v_add_u32_e32 v0, v55, v0
	v_ashrrev_i32_e32 v45, 11, v0
	v_sub_u32_e32 v43, v45, v47
	s_waitcnt vmcnt(0)
	v_ashrrev_i32_e32 v0, 31, v42
	v_cmp_lt_i32_e32 vcc, 0, v43
	v_lshrrev_b32_e32 v44, 26, v0
	s_and_saveexec_b64 s[74:75], vcc
	s_cbranch_execz .LBB6_181
; %bb.178:                              ;   in Loop: Header=BB6_93 Depth=3
	v_add_u32_e32 v0, v42, v44
	v_and_b32_e32 v0, 0xffffffc0, v0
	v_sub_u32_e32 v0, v42, v0
	v_lshlrev_b32_e32 v1, 11, v47
	v_mov_b32_e32 v62, v21
	v_add3_u32 v46, v33, v0, v1
	v_mov_b32_e32 v59, v12
	v_mov_b32_e32 v61, v20
	v_ashrrev_i32_e32 v47, 31, v46
	s_mov_b64 s[76:77], 0
.LBB6_179:                              ;   Parent Loop BB6_53 Depth=1
                                        ;     Parent Loop BB6_89 Depth=2
                                        ;       Parent Loop BB6_93 Depth=3
                                        ; =>      This Inner Loop Header: Depth=4
	v_add_co_u32_e32 v0, vcc, v46, v53
	v_addc_co_u32_e32 v1, vcc, v47, v54, vcc
	flat_load_ubyte v2, v[0:1] glc slc
	flat_load_ubyte v3, v[0:1] offset:64 glc slc
	flat_load_ubyte v4, v[0:1] offset:128 glc slc
	;; [unrolled: 1-line block ×31, first 2 shown]
	v_add_co_u32_e32 v0, vcc, v46, v40
	v_addc_co_u32_e32 v1, vcc, v47, v41, vcc
	v_add_co_u32_e32 v53, vcc, v53, v26
	v_addc_co_u32_e32 v54, vcc, 0, v54, vcc
	v_add_co_u32_e32 v40, vcc, v40, v26
	v_sub_u32_e32 v43, v43, v24
	v_addc_co_u32_e32 v41, vcc, 0, v41, vcc
	v_cmp_gt_i32_e32 vcc, 1, v43
	s_or_b64 s[76:77], vcc, s[76:77]
	s_waitcnt vmcnt(0) lgkmcnt(0)
	flat_store_byte v[0:1], v2 glc slc
	flat_store_byte v[0:1], v3 offset:64 glc slc
	flat_store_byte v[0:1], v4 offset:128 glc slc
	;; [unrolled: 1-line block ×31, first 2 shown]
	s_andn2_b64 exec, exec, s[76:77]
	s_cbranch_execnz .LBB6_179
; %bb.180:                              ;   in Loop: Header=BB6_93 Depth=3
	s_or_b64 exec, exec, s[76:77]
	buffer_load_dword v4, off, s[0:3], s33 offset:64 ; 4-byte Folded Reload
	buffer_load_dword v5, off, s[0:3], s33 offset:68 ; 4-byte Folded Reload
	;; [unrolled: 1-line block ×15, first 2 shown]
	v_mov_b32_e32 v20, v61
	v_mov_b32_e32 v21, v62
	;; [unrolled: 1-line block ×6, first 2 shown]
.LBB6_181:                              ;   in Loop: Header=BB6_93 Depth=3
	s_or_b64 exec, exec, s[74:75]
	buffer_load_dword v18, off, s[0:3], s33 offset:168 ; 4-byte Folded Reload
	buffer_load_dword v19, off, s[0:3], s33 offset:172 ; 4-byte Folded Reload
	v_lshlrev_b32_e32 v53, 11, v45
	v_cmp_ne_u32_e32 vcc, v55, v53
	s_and_b64 s[74:75], exec, vcc
	s_mov_b64 exec, s[74:75]
	s_cbranch_execz .LBB6_185
; %bb.182:                              ;   in Loop: Header=BB6_93 Depth=3
	v_add_u32_e32 v0, v42, v44
	v_and_b32_e32 v0, 0xffffffc0, v0
	v_sub_u32_e32 v0, v42, v0
	v_lshlrev_b32_e32 v1, 6, v43
	v_sub_u32_e32 v0, v0, v1
	v_add_u32_e32 v53, v53, v0
	v_sub_u32_e32 v55, v55, v53
	v_cmp_lt_i32_e32 vcc, 0, v55
	s_and_b64 exec, exec, vcc
	s_cbranch_execz .LBB6_185
; %bb.183:                              ;   in Loop: Header=BB6_93 Depth=3
	v_add_u32_e32 v33, v53, v33
	s_trap 2
	ds_read_b64 v[53:54], v0
	v_ashrrev_i32_e32 v40, 31, v33
	s_mov_b64 s[74:75], 0
.LBB6_184:                              ;   Parent Loop BB6_53 Depth=1
                                        ;     Parent Loop BB6_89 Depth=2
                                        ;       Parent Loop BB6_93 Depth=3
                                        ; =>      This Inner Loop Header: Depth=4
	s_waitcnt lgkmcnt(0)
	v_add_co_u32_e32 v0, vcc, v53, v33
	v_addc_co_u32_e32 v1, vcc, v54, v40, vcc
	flat_load_ubyte v2, v[0:1] glc slc
	s_waitcnt vmcnt(0)
	v_add_co_u32_e32 v33, vcc, v33, v30
	v_sub_u32_e32 v55, v55, v30
	v_addc_co_u32_e32 v40, vcc, 0, v40, vcc
	v_cmp_gt_i32_e32 vcc, 1, v55
	s_or_b64 s[74:75], vcc, s[74:75]
	s_waitcnt lgkmcnt(0)
	flat_store_byte v[0:1], v2 glc slc
	s_andn2_b64 exec, exec, s[74:75]
	s_cbranch_execnz .LBB6_184
.LBB6_185:                              ;   in Loop: Header=BB6_93 Depth=3
	s_or_b64 exec, exec, s[22:23]
	v_cmp_lt_i32_e64 s[22:23], 0, v25
	v_lshlrev_b32_e32 v44, 10, v24
	s_and_saveexec_b64 s[74:75], s[6:7]
	s_cbranch_execz .LBB6_204
.LBB6_186:                              ;   in Loop: Header=BB6_93 Depth=3
	s_and_saveexec_b64 s[76:77], s[28:29]
	s_xor_b64 s[76:77], exec, s[76:77]
	s_cbranch_execz .LBB6_201
; %bb.187:                              ;   in Loop: Header=BB6_93 Depth=3
	s_and_saveexec_b64 s[78:79], s[12:13]
	s_cbranch_execz .LBB6_200
; %bb.188:                              ;   in Loop: Header=BB6_93 Depth=3
	s_mov_b64 s[90:91], exec
	v_mbcnt_lo_u32_b32 v0, s90, 0
	v_mbcnt_hi_u32_b32 v0, s91, v0
	v_cmp_eq_u32_e32 vcc, 0, v0
	s_waitcnt vmcnt(0) lgkmcnt(0)
	buffer_wbinvl1_vol
	s_and_saveexec_b64 s[88:89], vcc
	s_cbranch_execz .LBB6_190
; %bb.189:                              ;   in Loop: Header=BB6_93 Depth=3
	s_bcnt1_i32_b64 s90, s[90:91]
	v_mov_b32_e32 v0, s90
	v_mov_b32_e32 v1, v12
	ds_add_u64 v0, v[0:1]
	s_trap 2
.LBB6_190:                              ;   in Loop: Header=BB6_93 Depth=3
	s_or_b64 exec, exec, s[88:89]
	s_trap 2
	ds_read_b64 v[0:1], v0
	s_waitcnt lgkmcnt(0)
	v_add_co_u32_e32 v20, vcc, v20, v24
	v_addc_co_u32_e32 v21, vcc, 0, v21, vcc
	v_cmp_lt_u64_e32 vcc, v[0:1], v[20:21]
	s_and_saveexec_b64 s[88:89], vcc
	s_cbranch_execz .LBB6_199
; %bb.191:                              ;   in Loop: Header=BB6_93 Depth=3
	s_mov_b32 s36, 0
	s_mov_b64 s[90:91], 0
                                        ; implicit-def: $sgpr92_sgpr93
                                        ; implicit-def: $sgpr94_sgpr95
	s_branch .LBB6_193
.LBB6_192:                              ;   in Loop: Header=BB6_193 Depth=4
	s_or_b64 exec, exec, s[34:35]
	s_and_b64 vcc, exec, vcc
	s_or_b64 s[90:91], vcc, s[90:91]
	s_andn2_b64 s[92:93], s[92:93], exec
	s_and_b64 vcc, s[94:95], exec
	s_or_b64 s[92:93], s[92:93], vcc
	s_andn2_b64 exec, exec, s[90:91]
	s_cbranch_execz .LBB6_197
.LBB6_193:                              ;   Parent Loop BB6_53 Depth=1
                                        ;     Parent Loop BB6_89 Depth=2
                                        ;       Parent Loop BB6_93 Depth=3
                                        ; =>      This Inner Loop Header: Depth=4
	s_add_i32 s36, s36, 1
	s_cmpk_lg_i32 s36, 0x2710
	s_cselect_b64 s[30:31], -1, 0
	s_and_b64 vcc, exec, s[30:31]
	s_cbranch_vccz .LBB6_195
; %bb.194:                              ;   in Loop: Header=BB6_193 Depth=4
	s_mov_b64 vcc, -1
	s_or_b64 s[94:95], s[94:95], exec
	s_and_saveexec_b64 s[34:35], s[30:31]
	s_cbranch_execz .LBB6_192
	s_branch .LBB6_196
.LBB6_195:                              ;   in Loop: Header=BB6_193 Depth=4
	s_trap 2
	ds_read_b64 v[0:1], v0
	s_andn2_b64 s[30:31], s[30:31], exec
	s_mov_b32 s36, 0
	s_waitcnt lgkmcnt(0)
	flat_load_dword v0, v[0:1] glc
	s_waitcnt vmcnt(0) lgkmcnt(0)
	buffer_wbinvl1_vol
	v_cmp_eq_u32_e32 vcc, 0, v0
	s_and_b64 vcc, vcc, exec
	s_or_b64 s[30:31], s[30:31], vcc
	s_mov_b64 vcc, -1
	s_or_b64 s[94:95], s[94:95], exec
	s_and_saveexec_b64 s[34:35], s[30:31]
	s_cbranch_execz .LBB6_192
.LBB6_196:                              ;   in Loop: Header=BB6_193 Depth=4
	s_sleep 1
	s_trap 2
	ds_read_b64 v[0:1], v0
	s_waitcnt lgkmcnt(0)
	s_andn2_b64 s[94:95], s[94:95], exec
	v_cmp_ge_u64_e32 vcc, v[0:1], v[20:21]
	s_orn2_b64 vcc, vcc, exec
	s_branch .LBB6_192
.LBB6_197:                              ;   in Loop: Header=BB6_93 Depth=3
	s_or_b64 exec, exec, s[90:91]
	s_and_saveexec_b64 s[90:91], s[92:93]
	s_xor_b64 s[90:91], exec, s[90:91]
	s_cbranch_execz .LBB6_199
; %bb.198:                              ;   in Loop: Header=BB6_93 Depth=3
	ds_write_b32 v0, v29
	s_trap 2
.LBB6_199:                              ;   in Loop: Header=BB6_93 Depth=3
	s_or_b64 exec, exec, s[88:89]
	;;#ASMSTART
	s_wakeup
	;;#ASMEND
.LBB6_200:                              ;   in Loop: Header=BB6_93 Depth=3
	s_or_b64 exec, exec, s[78:79]
.LBB6_201:                              ;   in Loop: Header=BB6_93 Depth=3
	s_andn2_saveexec_b64 s[76:77], s[76:77]
	s_cbranch_execz .LBB6_203
; %bb.202:                              ;   in Loop: Header=BB6_93 Depth=3
	s_waitcnt vmcnt(0) lgkmcnt(0)
	buffer_wbinvl1_vol
	s_barrier
.LBB6_203:                              ;   in Loop: Header=BB6_93 Depth=3
	s_or_b64 exec, exec, s[76:77]
.LBB6_204:                              ;   in Loop: Header=BB6_93 Depth=3
	s_or_b64 exec, exec, s[74:75]
	v_and_b32_e32 v25, 16, v39
	v_cmp_ne_u32_e32 vcc, 0, v25
	s_and_b64 s[74:75], vcc, s[22:23]
	s_and_saveexec_b64 s[22:23], s[74:75]
	s_cbranch_execz .LBB6_206
; %bb.205:                              ;   in Loop: Header=BB6_93 Depth=3
	s_waitcnt vmcnt(0) lgkmcnt(0)
	buffer_wbinvl1_vol
.LBB6_206:                              ;   in Loop: Header=BB6_93 Depth=3
	s_or_b64 exec, exec, s[22:23]
	v_cmp_ne_u32_e32 vcc, 0, v25
	s_and_saveexec_b64 s[22:23], vcc
	s_cbranch_execz .LBB6_92
; %bb.207:                              ;   in Loop: Header=BB6_93 Depth=3
	s_and_saveexec_b64 s[74:75], s[20:21]
	s_cbranch_execz .LBB6_91
; %bb.208:                              ;   in Loop: Header=BB6_93 Depth=3
	s_waitcnt vmcnt(0)
	flat_store_dword v[10:11], v29
	s_branch .LBB6_91
.LBB6_209:                              ;   in Loop: Header=BB6_89 Depth=2
	s_or_b64 exec, exec, s[60:61]
	v_cmp_gt_i32_e32 vcc, 2, v25
	s_and_saveexec_b64 s[60:61], vcc
	s_cbranch_execz .LBB6_260
.LBB6_210:                              ;   in Loop: Header=BB6_89 Depth=2
	v_cmp_eq_u32_e64 s[72:73], 0, v25
	s_mov_b64 s[62:63], 0
	s_branch .LBB6_213
.LBB6_211:                              ;   in Loop: Header=BB6_213 Depth=3
	s_or_b64 exec, exec, s[72:73]
	v_add_co_u32_e32 v31, vcc, 2, v31
	v_addc_co_u32_e32 v32, vcc, 0, v32, vcc
	flat_store_dwordx2 v[16:17], v[31:32]
.LBB6_212:                              ;   in Loop: Header=BB6_213 Depth=3
	s_or_b64 exec, exec, s[22:23]
	v_add_u32_e32 v37, v52, v37
	s_mov_b64 s[72:73], 0
	s_andn2_b64 exec, exec, s[62:63]
	s_cbranch_execz .LBB6_261
.LBB6_213:                              ;   Parent Loop BB6_53 Depth=1
                                        ;     Parent Loop BB6_89 Depth=2
                                        ; =>    This Loop Header: Depth=3
                                        ;         Child Loop BB6_219 Depth 4
                                        ;         Child Loop BB6_243 Depth 4
	v_sub_u32_e32 v0, v50, v37
	v_min_i32_e32 v52, v52, v0
	v_and_b32_e32 v0, 8, v39
	v_cmp_ne_u32_e32 vcc, 0, v0
	s_and_saveexec_b64 s[74:75], vcc
	s_cbranch_execz .LBB6_235
; %bb.214:                              ;   in Loop: Header=BB6_213 Depth=3
	s_waitcnt vmcnt(0)
	v_add_co_u32_e32 v0, vcc, 8, v22
	v_addc_co_u32_e32 v1, vcc, 0, v23, vcc
	v_add_co_u32_e32 v54, vcc, 2, v31
	v_addc_co_u32_e32 v55, vcc, 0, v32, vcc
	v_cmp_lt_u64_e32 vcc, v[0:1], v[54:55]
	s_and_saveexec_b64 s[76:77], vcc
	s_cbranch_execz .LBB6_226
; %bb.215:                              ;   in Loop: Header=BB6_213 Depth=3
	v_and_b32_e32 v0, 64, v39
	s_mov_b32 s64, 0
	v_cmp_eq_u32_e32 vcc, 0, v0
	s_mov_b64 s[78:79], 0
                                        ; implicit-def: $sgpr88_sgpr89
                                        ; implicit-def: $sgpr90_sgpr91
                                        ; implicit-def: $sgpr92_sgpr93
	s_branch .LBB6_219
.LBB6_216:                              ;   in Loop: Header=BB6_219 Depth=4
	s_waitcnt vmcnt(0) lgkmcnt(0)
	v_add_co_u32_e64 v0, s[22:23], 8, v22
	v_addc_co_u32_e64 v1, s[22:23], 0, v23, s[22:23]
	v_cmp_ge_u64_e64 s[22:23], v[0:1], v[54:55]
	s_or_b64 s[34:35], s[34:35], exec
	s_orn2_b64 s[30:31], s[22:23], exec
.LBB6_217:                              ;   in Loop: Header=BB6_219 Depth=4
	s_or_b64 exec, exec, s[38:39]
	s_andn2_b64 s[22:23], s[92:93], exec
	s_and_b64 s[92:93], s[34:35], exec
	s_or_b64 s[92:93], s[22:23], s[92:93]
	s_andn2_b64 s[22:23], s[90:91], exec
	s_and_b64 s[90:91], s[30:31], exec
	s_or_b64 s[90:91], s[22:23], s[90:91]
.LBB6_218:                              ;   in Loop: Header=BB6_219 Depth=4
	s_or_b64 exec, exec, s[94:95]
	s_and_b64 s[22:23], exec, s[90:91]
	s_or_b64 s[78:79], s[22:23], s[78:79]
	s_andn2_b64 s[22:23], s[88:89], exec
	s_and_b64 s[88:89], s[92:93], exec
	s_or_b64 s[88:89], s[22:23], s[88:89]
	s_andn2_b64 exec, exec, s[78:79]
	s_cbranch_execz .LBB6_223
.LBB6_219:                              ;   Parent Loop BB6_53 Depth=1
                                        ;     Parent Loop BB6_89 Depth=2
                                        ;       Parent Loop BB6_213 Depth=3
                                        ; =>      This Inner Loop Header: Depth=4
	s_sleep 1
	s_waitcnt vmcnt(0) lgkmcnt(0)
	flat_load_dwordx2 v[22:23], v[16:17] glc
	s_or_b64 s[92:93], s[92:93], exec
	s_or_b64 s[90:91], s[90:91], exec
                                        ; implicit-def: $vgpr25
	s_and_saveexec_b64 s[94:95], vcc
	s_cbranch_execz .LBB6_218
; %bb.220:                              ;   in Loop: Header=BB6_219 Depth=4
	s_cmpk_lt_i32 s64, 0x270f
	s_cselect_b64 s[36:37], -1, 0
	s_cmpk_gt_i32 s64, 0x270e
	s_mov_b64 s[30:31], -1
	s_cbranch_scc0 .LBB6_222
; %bb.221:                              ;   in Loop: Header=BB6_219 Depth=4
	s_trap 2
	ds_read_b64 v[0:1], v0
	s_andn2_b64 s[36:37], s[36:37], exec
	s_mov_b32 s64, 0
	s_mov_b64 s[34:35], 0
	s_waitcnt vmcnt(0) lgkmcnt(0)
	flat_load_dword v25, v[0:1] glc
	s_waitcnt vmcnt(0) lgkmcnt(0)
	buffer_wbinvl1_vol
	v_cmp_eq_u32_e64 s[22:23], 0, v25
	s_and_b64 s[22:23], s[22:23], exec
	s_or_b64 s[36:37], s[36:37], s[22:23]
	s_and_saveexec_b64 s[38:39], s[36:37]
	s_cbranch_execz .LBB6_217
	s_branch .LBB6_216
.LBB6_222:                              ;   in Loop: Header=BB6_219 Depth=4
	s_add_i32 s64, s64, 1
	s_mov_b64 s[34:35], -1
                                        ; implicit-def: $vgpr25
	s_and_saveexec_b64 s[38:39], s[36:37]
	s_cbranch_execz .LBB6_217
	s_branch .LBB6_216
.LBB6_223:                              ;   in Loop: Header=BB6_213 Depth=3
	s_or_b64 exec, exec, s[78:79]
	s_xor_b64 s[22:23], s[88:89], -1
	s_and_saveexec_b64 s[78:79], s[22:23]
	s_xor_b64 s[22:23], exec, s[78:79]
	s_cbranch_execz .LBB6_225
; %bb.224:                              ;   in Loop: Header=BB6_213 Depth=3
	v_or_b32_e32 v39, 64, v39
	s_waitcnt lgkmcnt(0)
	ds_write_b32 v0, v25
	s_trap 2
.LBB6_225:                              ;   in Loop: Header=BB6_213 Depth=3
	s_or_b64 exec, exec, s[22:23]
.LBB6_226:                              ;   in Loop: Header=BB6_213 Depth=3
	s_or_b64 exec, exec, s[76:77]
	v_and_b32_e32 v0, 0x100, v39
	v_cmp_ne_u32_e32 vcc, 0, v0
	v_and_b32_e32 v25, 7, v31
	s_mov_b64 s[22:23], -1
	;;#ASMSTART
	s_wakeup
	;;#ASMEND
                                        ; implicit-def: $vgpr48_vgpr49
	s_and_saveexec_b64 s[76:77], vcc
	s_cbranch_execz .LBB6_230
; %bb.227:                              ;   in Loop: Header=BB6_213 Depth=3
	v_mad_u64_u32 v[40:41], s[22:23], v25, 24, v[4:5]
	v_ashrrev_i32_e32 v53, 31, v52
                                        ; implicit-def: $vgpr48_vgpr49
	flat_load_dword v0, v[40:41]
	s_nop 0
	flat_store_dwordx2 v[40:41], v[52:53] offset:8
	s_waitcnt vmcnt(0) lgkmcnt(0)
	v_cmp_ne_u32_e32 vcc, 1, v0
	v_cmp_eq_u32_e64 s[22:23], 1, v0
	s_and_saveexec_b64 s[78:79], s[22:23]
	s_cbranch_execz .LBB6_229
; %bb.228:                              ;   in Loop: Header=BB6_213 Depth=3
	flat_load_dword v48, v[40:41] offset:4 glc
	s_waitcnt vmcnt(0) lgkmcnt(0)
	v_ashrrev_i32_e32 v49, 31, v48
.LBB6_229:                              ;   in Loop: Header=BB6_213 Depth=3
	s_or_b64 exec, exec, s[78:79]
	s_orn2_b64 s[22:23], vcc, exec
.LBB6_230:                              ;   in Loop: Header=BB6_213 Depth=3
	s_or_b64 exec, exec, s[76:77]
	s_and_saveexec_b64 s[76:77], s[22:23]
; %bb.231:                              ;   in Loop: Header=BB6_213 Depth=3
	v_mad_i64_i32 v[48:49], s[22:23], v25, v60, 0
; %bb.232:                              ;   in Loop: Header=BB6_213 Depth=3
	s_or_b64 exec, exec, s[76:77]
	v_add_co_u32_e32 v0, vcc, v14, v48
	v_addc_co_u32_e32 v1, vcc, v15, v49, vcc
	ds_write_b64 v0, v[0:1] offset:784
	v_and_b32_e32 v0, 0x2000, v39
	v_cmp_ne_u32_e32 vcc, 0, v0
	s_and_saveexec_b64 s[22:23], vcc
	s_cbranch_execz .LBB6_234
; %bb.233:                              ;   in Loop: Header=BB6_213 Depth=3
	ds_read_b64 v[0:1], v0 offset:872
	s_waitcnt lgkmcnt(0)
	v_add_co_u32_e32 v0, vcc, 1, v0
	v_addc_co_u32_e32 v1, vcc, 0, v1, vcc
	ds_write_b64 v0, v[0:1] offset:872
.LBB6_234:                              ;   in Loop: Header=BB6_213 Depth=3
	s_or_b64 exec, exec, s[22:23]
	v_mov_b32_e32 v31, v54
	v_mov_b32_e32 v32, v55
.LBB6_235:                              ;   in Loop: Header=BB6_213 Depth=3
	s_or_b64 exec, exec, s[74:75]
	s_xor_b64 s[22:23], s[72:73], -1
	s_and_b64 s[22:23], exec, s[22:23]
	s_or_b64 s[62:63], s[22:23], s[62:63]
	s_and_saveexec_b64 s[22:23], s[6:7]
	s_cbranch_execz .LBB6_254
; %bb.236:                              ;   in Loop: Header=BB6_213 Depth=3
	s_and_saveexec_b64 s[72:73], s[28:29]
	s_xor_b64 s[72:73], exec, s[72:73]
	s_cbranch_execz .LBB6_251
; %bb.237:                              ;   in Loop: Header=BB6_213 Depth=3
	s_and_saveexec_b64 s[74:75], s[12:13]
	s_cbranch_execz .LBB6_250
; %bb.238:                              ;   in Loop: Header=BB6_213 Depth=3
	s_mov_b64 s[78:79], exec
	v_mbcnt_lo_u32_b32 v0, s78, 0
	v_mbcnt_hi_u32_b32 v0, s79, v0
	v_cmp_eq_u32_e32 vcc, 0, v0
	s_waitcnt vmcnt(0) lgkmcnt(0)
	buffer_wbinvl1_vol
	s_and_saveexec_b64 s[76:77], vcc
	s_cbranch_execz .LBB6_240
; %bb.239:                              ;   in Loop: Header=BB6_213 Depth=3
	s_bcnt1_i32_b64 s78, s[78:79]
	v_mov_b32_e32 v0, s78
	v_mov_b32_e32 v1, v12
	ds_add_u64 v0, v[0:1]
	s_trap 2
.LBB6_240:                              ;   in Loop: Header=BB6_213 Depth=3
	s_or_b64 exec, exec, s[76:77]
	s_trap 2
	ds_read_b64 v[0:1], v0
	s_waitcnt lgkmcnt(0)
	v_add_co_u32_e32 v20, vcc, v20, v24
	v_addc_co_u32_e32 v21, vcc, 0, v21, vcc
	v_cmp_lt_u64_e32 vcc, v[0:1], v[20:21]
	s_and_saveexec_b64 s[76:77], vcc
	s_cbranch_execz .LBB6_249
; %bb.241:                              ;   in Loop: Header=BB6_213 Depth=3
	s_mov_b32 s30, 0
	s_mov_b64 s[78:79], 0
                                        ; implicit-def: $sgpr88_sgpr89
                                        ; implicit-def: $sgpr90_sgpr91
	s_branch .LBB6_243
.LBB6_242:                              ;   in Loop: Header=BB6_243 Depth=4
	s_or_b64 exec, exec, s[94:95]
	s_and_b64 s[92:93], exec, vcc
	s_or_b64 s[78:79], s[92:93], s[78:79]
	s_andn2_b64 s[88:89], s[88:89], exec
	s_and_b64 s[92:93], s[90:91], exec
	s_or_b64 s[88:89], s[88:89], s[92:93]
	s_andn2_b64 exec, exec, s[78:79]
	s_cbranch_execz .LBB6_247
.LBB6_243:                              ;   Parent Loop BB6_53 Depth=1
                                        ;     Parent Loop BB6_89 Depth=2
                                        ;       Parent Loop BB6_213 Depth=3
                                        ; =>      This Inner Loop Header: Depth=4
	s_add_i32 s30, s30, 1
	s_cmpk_lg_i32 s30, 0x2710
	s_cselect_b64 s[92:93], -1, 0
	s_and_b64 vcc, exec, s[92:93]
	s_cbranch_vccz .LBB6_245
; %bb.244:                              ;   in Loop: Header=BB6_243 Depth=4
	s_mov_b64 vcc, -1
	s_or_b64 s[90:91], s[90:91], exec
	s_and_saveexec_b64 s[94:95], s[92:93]
	s_cbranch_execz .LBB6_242
	s_branch .LBB6_246
.LBB6_245:                              ;   in Loop: Header=BB6_243 Depth=4
	s_trap 2
	ds_read_b64 v[0:1], v0
	s_andn2_b64 s[92:93], s[92:93], exec
	s_mov_b32 s30, 0
	s_waitcnt lgkmcnt(0)
	flat_load_dword v0, v[0:1] glc
	s_waitcnt vmcnt(0) lgkmcnt(0)
	buffer_wbinvl1_vol
	v_cmp_eq_u32_e32 vcc, 0, v0
	s_and_b64 s[94:95], vcc, exec
	s_or_b64 s[92:93], s[92:93], s[94:95]
	s_mov_b64 vcc, -1
	s_or_b64 s[90:91], s[90:91], exec
	s_and_saveexec_b64 s[94:95], s[92:93]
	s_cbranch_execz .LBB6_242
.LBB6_246:                              ;   in Loop: Header=BB6_243 Depth=4
	s_sleep 1
	s_trap 2
	ds_read_b64 v[0:1], v0
	s_waitcnt lgkmcnt(0)
	s_andn2_b64 s[90:91], s[90:91], exec
	v_cmp_ge_u64_e32 vcc, v[0:1], v[20:21]
	s_orn2_b64 vcc, vcc, exec
	s_branch .LBB6_242
.LBB6_247:                              ;   in Loop: Header=BB6_213 Depth=3
	s_or_b64 exec, exec, s[78:79]
	s_and_saveexec_b64 s[78:79], s[88:89]
	s_xor_b64 s[78:79], exec, s[78:79]
	s_cbranch_execz .LBB6_249
; %bb.248:                              ;   in Loop: Header=BB6_213 Depth=3
	ds_write_b32 v0, v29
	s_trap 2
.LBB6_249:                              ;   in Loop: Header=BB6_213 Depth=3
	s_or_b64 exec, exec, s[76:77]
	;;#ASMSTART
	s_wakeup
	;;#ASMEND
.LBB6_250:                              ;   in Loop: Header=BB6_213 Depth=3
	s_or_b64 exec, exec, s[74:75]
.LBB6_251:                              ;   in Loop: Header=BB6_213 Depth=3
	s_andn2_saveexec_b64 s[72:73], s[72:73]
	s_cbranch_execz .LBB6_253
; %bb.252:                              ;   in Loop: Header=BB6_213 Depth=3
	s_waitcnt vmcnt(0) lgkmcnt(0)
	buffer_wbinvl1_vol
	s_barrier
.LBB6_253:                              ;   in Loop: Header=BB6_213 Depth=3
	s_or_b64 exec, exec, s[72:73]
.LBB6_254:                              ;   in Loop: Header=BB6_213 Depth=3
	s_or_b64 exec, exec, s[22:23]
	s_trap 2
	ds_read_b32 v0, v0
	v_cmp_lt_i32_e32 vcc, 0, v52
	v_and_b32_e32 v25, 16, v39
	s_waitcnt lgkmcnt(0)
	v_readfirstlane_b32 s22, v0
	s_cmp_eq_u32 s22, 0
	s_cselect_b64 s[22:23], -1, 0
	s_and_b64 s[22:23], vcc, s[22:23]
	v_cmp_ne_u32_e32 vcc, 0, v25
	s_and_b64 s[72:73], vcc, s[22:23]
	s_and_saveexec_b64 s[22:23], s[72:73]
	s_cbranch_execz .LBB6_256
; %bb.255:                              ;   in Loop: Header=BB6_213 Depth=3
	s_waitcnt vmcnt(0)
	buffer_wbinvl1_vol
.LBB6_256:                              ;   in Loop: Header=BB6_213 Depth=3
	s_or_b64 exec, exec, s[22:23]
	v_cmp_ne_u32_e32 vcc, 0, v25
	s_and_saveexec_b64 s[22:23], vcc
	s_cbranch_execz .LBB6_212
; %bb.257:                              ;   in Loop: Header=BB6_213 Depth=3
	s_and_saveexec_b64 s[72:73], s[20:21]
	s_cbranch_execz .LBB6_211
; %bb.258:                              ;   in Loop: Header=BB6_213 Depth=3
	flat_store_dword v[10:11], v29
	s_branch .LBB6_211
.LBB6_259:                              ;   in Loop: Header=BB6_89 Depth=2
	s_or_b64 exec, exec, s[62:63]
	s_or_b64 exec, exec, s[60:61]
	v_cmp_gt_i32_e32 vcc, 2, v25
	s_and_saveexec_b64 s[60:61], vcc
	s_cbranch_execnz .LBB6_210
.LBB6_260:                              ;   in Loop: Header=BB6_89 Depth=2
	s_or_b64 exec, exec, s[60:61]
	s_andn2_b64 vcc, exec, s[56:57]
	s_cbranch_vccz .LBB6_262
	s_branch .LBB6_445
.LBB6_261:                              ;   in Loop: Header=BB6_89 Depth=2
	s_or_b64 exec, exec, s[62:63]
	s_or_b64 exec, exec, s[60:61]
	s_andn2_b64 vcc, exec, s[56:57]
	s_cbranch_vccnz .LBB6_445
.LBB6_262:                              ;   in Loop: Header=BB6_89 Depth=2
	v_max_i32_e32 v25, 0, v50
	v_add_u32_e32 v0, 31, v25
	v_lshrrev_b32_e32 v0, 1, v0
	v_and_b32_e32 v0, 0x3ffffff0, v0
	s_mov_b32 s64, 0
	v_max_i32_e32 v0, s51, v0
	buffer_store_dword v0, off, s[0:3], s33 offset:148 ; 4-byte Folded Spill
	s_branch .LBB6_265
.LBB6_263:                              ;   in Loop: Header=BB6_265 Depth=3
	s_or_b64 exec, exec, s[62:63]
.LBB6_264:                              ;   in Loop: Header=BB6_265 Depth=3
	s_or_b64 exec, exec, s[60:61]
	s_add_i32 s64, s64, 1
	s_cmp_eq_u32 s64, s49
	s_cbranch_scc1 .LBB6_444
.LBB6_265:                              ;   Parent Loop BB6_53 Depth=1
                                        ;     Parent Loop BB6_89 Depth=2
                                        ; =>    This Loop Header: Depth=3
                                        ;         Child Loop BB6_268 Depth 4
                                        ;           Child Loop BB6_276 Depth 5
                                        ;           Child Loop BB6_304 Depth 5
	;; [unrolled: 1-line block ×8, first 2 shown]
                                        ;         Child Loop BB6_393 Depth 4
                                        ;           Child Loop BB6_399 Depth 5
                                        ;           Child Loop BB6_427 Depth 5
	buffer_load_dword v8, off, s[0:3], s33 offset:148 ; 4-byte Folded Reload
	v_mov_b32_e32 v9, 0
	v_mov_b32_e32 v45, 0
	s_and_saveexec_b64 s[60:61], s[58:59]
	s_cbranch_execz .LBB6_390
; %bb.266:                              ;   in Loop: Header=BB6_265 Depth=3
	buffer_load_dword v8, off, s[0:3], s33 offset:148 ; 4-byte Folded Reload
	s_mov_b32 s65, 1
	s_mov_b64 s[72:73], -1
	v_mov_b32_e32 v45, 0
	s_mov_b64 s[62:63], 0
	s_branch .LBB6_268
.LBB6_267:                              ;   in Loop: Header=BB6_268 Depth=4
	s_or_b64 exec, exec, s[22:23]
	v_add_u32_e32 v45, v8, v45
	v_cmp_ge_i32_e32 vcc, v45, v25
	s_xor_b64 s[22:23], s[72:73], -1
	s_or_b64 s[22:23], s[22:23], vcc
	s_and_b64 s[22:23], exec, s[22:23]
	s_or_b64 s[62:63], s[22:23], s[62:63]
	s_mov_b64 s[72:73], 0
	v_mov_b32_e32 v9, s65
	s_mov_b32 s65, 2
	s_andn2_b64 exec, exec, s[62:63]
	s_cbranch_execz .LBB6_389
.LBB6_268:                              ;   Parent Loop BB6_53 Depth=1
                                        ;     Parent Loop BB6_89 Depth=2
                                        ;       Parent Loop BB6_265 Depth=3
                                        ; =>      This Loop Header: Depth=4
                                        ;           Child Loop BB6_276 Depth 5
                                        ;           Child Loop BB6_304 Depth 5
	;; [unrolled: 1-line block ×8, first 2 shown]
	s_and_saveexec_b64 s[22:23], s[4:5]
	s_cbranch_execz .LBB6_270
; %bb.269:                              ;   in Loop: Header=BB6_268 Depth=4
	s_waitcnt vmcnt(0)
	v_mov_b32_e32 v13, v12
	ds_write_b64 v0, v[12:13]
	s_trap 2
.LBB6_270:                              ;   in Loop: Header=BB6_268 Depth=4
	s_or_b64 exec, exec, s[22:23]
	v_sub_u32_e32 v0, v25, v45
	s_waitcnt vmcnt(0)
	v_min_i32_e32 v8, v8, v0
	v_and_b32_e32 v0, 12, v39
	v_cmp_ne_u32_e32 vcc, 0, v0
	s_and_saveexec_b64 s[74:75], vcc
	s_cbranch_execz .LBB6_296
; %bb.271:                              ;   in Loop: Header=BB6_268 Depth=4
	v_and_b32_e32 v33, 8, v39
	v_add_co_u32_e32 v0, vcc, v22, v33
	v_addc_co_u32_e32 v1, vcc, 0, v23, vcc
	v_add_co_u32_e32 v52, vcc, 2, v31
	v_addc_co_u32_e32 v53, vcc, 0, v32, vcc
	v_cmp_lt_u64_e32 vcc, v[0:1], v[52:53]
	s_and_saveexec_b64 s[76:77], vcc
	s_cbranch_execz .LBB6_283
; %bb.272:                              ;   in Loop: Header=BB6_268 Depth=4
	v_and_b32_e32 v0, 64, v39
	s_mov_b32 s66, 0
	v_cmp_eq_u32_e32 vcc, 0, v0
	s_mov_b64 s[78:79], 0
                                        ; implicit-def: $sgpr88_sgpr89
                                        ; implicit-def: $sgpr90_sgpr91
                                        ; implicit-def: $sgpr92_sgpr93
	s_branch .LBB6_276
.LBB6_273:                              ;   in Loop: Header=BB6_276 Depth=5
	s_waitcnt vmcnt(0) lgkmcnt(0)
	v_add_co_u32_e64 v0, s[22:23], v22, v33
	v_addc_co_u32_e64 v1, s[22:23], 0, v23, s[22:23]
	v_cmp_ge_u64_e64 s[22:23], v[0:1], v[52:53]
	s_or_b64 s[34:35], s[34:35], exec
	s_orn2_b64 s[30:31], s[22:23], exec
.LBB6_274:                              ;   in Loop: Header=BB6_276 Depth=5
	s_or_b64 exec, exec, s[38:39]
	s_andn2_b64 s[22:23], s[92:93], exec
	s_and_b64 s[92:93], s[34:35], exec
	s_or_b64 s[92:93], s[22:23], s[92:93]
	s_andn2_b64 s[22:23], s[90:91], exec
	s_and_b64 s[90:91], s[30:31], exec
	s_or_b64 s[90:91], s[22:23], s[90:91]
.LBB6_275:                              ;   in Loop: Header=BB6_276 Depth=5
	s_or_b64 exec, exec, s[94:95]
	s_and_b64 s[22:23], exec, s[90:91]
	s_or_b64 s[78:79], s[22:23], s[78:79]
	s_andn2_b64 s[22:23], s[88:89], exec
	s_and_b64 s[88:89], s[92:93], exec
	s_or_b64 s[88:89], s[22:23], s[88:89]
	s_andn2_b64 exec, exec, s[78:79]
	s_cbranch_execz .LBB6_280
.LBB6_276:                              ;   Parent Loop BB6_53 Depth=1
                                        ;     Parent Loop BB6_89 Depth=2
                                        ;       Parent Loop BB6_265 Depth=3
                                        ;         Parent Loop BB6_268 Depth=4
                                        ; =>        This Inner Loop Header: Depth=5
	s_sleep 1
	s_waitcnt vmcnt(0) lgkmcnt(0)
	flat_load_dwordx2 v[22:23], v[16:17] glc
	s_or_b64 s[92:93], s[92:93], exec
	s_or_b64 s[90:91], s[90:91], exec
                                        ; implicit-def: $vgpr9
	s_and_saveexec_b64 s[94:95], vcc
	s_cbranch_execz .LBB6_275
; %bb.277:                              ;   in Loop: Header=BB6_276 Depth=5
	s_cmpk_lt_i32 s66, 0x270f
	s_cselect_b64 s[36:37], -1, 0
	s_cmpk_gt_i32 s66, 0x270e
	s_mov_b64 s[30:31], -1
	s_cbranch_scc0 .LBB6_279
; %bb.278:                              ;   in Loop: Header=BB6_276 Depth=5
	s_trap 2
	ds_read_b64 v[0:1], v0
	s_andn2_b64 s[36:37], s[36:37], exec
	s_mov_b32 s66, 0
	s_mov_b64 s[34:35], 0
	s_waitcnt vmcnt(0) lgkmcnt(0)
	flat_load_dword v9, v[0:1] glc
	s_waitcnt vmcnt(0) lgkmcnt(0)
	buffer_wbinvl1_vol
	v_cmp_eq_u32_e64 s[22:23], 0, v9
	s_and_b64 s[22:23], s[22:23], exec
	s_or_b64 s[36:37], s[36:37], s[22:23]
	s_and_saveexec_b64 s[38:39], s[36:37]
	s_cbranch_execz .LBB6_274
	s_branch .LBB6_273
.LBB6_279:                              ;   in Loop: Header=BB6_276 Depth=5
	s_add_i32 s66, s66, 1
	s_mov_b64 s[34:35], -1
                                        ; implicit-def: $vgpr9
	s_and_saveexec_b64 s[38:39], s[36:37]
	s_cbranch_execz .LBB6_274
	s_branch .LBB6_273
.LBB6_280:                              ;   in Loop: Header=BB6_268 Depth=4
	s_or_b64 exec, exec, s[78:79]
	s_xor_b64 s[22:23], s[88:89], -1
	s_and_saveexec_b64 s[78:79], s[22:23]
	s_xor_b64 s[22:23], exec, s[78:79]
	s_cbranch_execz .LBB6_282
; %bb.281:                              ;   in Loop: Header=BB6_268 Depth=4
	v_or_b32_e32 v39, 64, v39
	s_waitcnt lgkmcnt(0)
	ds_write_b32 v0, v9
	s_trap 2
.LBB6_282:                              ;   in Loop: Header=BB6_268 Depth=4
	s_or_b64 exec, exec, s[22:23]
.LBB6_283:                              ;   in Loop: Header=BB6_268 Depth=4
	s_or_b64 exec, exec, s[76:77]
	v_and_b32_e32 v0, 0x108, v39
	v_cmp_ne_u32_e32 vcc, s55, v0
	v_and_b32_e32 v40, 7, v31
	;;#ASMSTART
	s_wakeup
	;;#ASMEND
	s_and_saveexec_b64 s[22:23], vcc
	s_xor_b64 s[22:23], exec, s[22:23]
                                        ; implicit-def: $vgpr41
; %bb.284:                              ;   in Loop: Header=BB6_268 Depth=4
	v_mov_b32_e32 v41, v12
; %bb.285:                              ;   in Loop: Header=BB6_268 Depth=4
	s_andn2_saveexec_b64 s[22:23], s[22:23]
	s_cbranch_execz .LBB6_287
; %bb.286:                              ;   in Loop: Header=BB6_268 Depth=4
	v_mad_u64_u32 v[0:1], s[76:77], v40, 24, v[4:5]
	v_mov_b32_e32 v41, v12
	v_ashrrev_i32_e32 v9, 31, v8
	flat_store_dwordx2 v[0:1], v[8:9] offset:8
.LBB6_287:                              ;   in Loop: Header=BB6_268 Depth=4
	s_or_b64 exec, exec, s[22:23]
	v_and_b32_e32 v0, 0x100, v39
	v_cmp_ne_u32_e32 vcc, 0, v0
	s_mov_b64 s[22:23], -1
                                        ; implicit-def: $vgpr48_vgpr49
	s_and_saveexec_b64 s[76:77], vcc
	s_cbranch_execz .LBB6_291
; %bb.288:                              ;   in Loop: Header=BB6_268 Depth=4
	v_mad_u64_u32 v[54:55], s[22:23], v40, 24, v[4:5]
                                        ; implicit-def: $vgpr48_vgpr49
	v_mov_b32_e32 v0, v55
	v_mad_u64_u32 v[0:1], s[22:23], v41, 24, v[0:1]
	v_mov_b32_e32 v55, v0
	flat_load_dword v0, v[54:55]
	s_waitcnt vmcnt(0) lgkmcnt(0)
	v_cmp_ne_u32_e32 vcc, 1, v0
	v_cmp_eq_u32_e64 s[22:23], 1, v0
	s_and_saveexec_b64 s[78:79], s[22:23]
	s_cbranch_execz .LBB6_290
; %bb.289:                              ;   in Loop: Header=BB6_268 Depth=4
	flat_load_dword v48, v[54:55] offset:4 glc
	s_waitcnt vmcnt(0) lgkmcnt(0)
	v_ashrrev_i32_e32 v49, 31, v48
.LBB6_290:                              ;   in Loop: Header=BB6_268 Depth=4
	s_or_b64 exec, exec, s[78:79]
	s_orn2_b64 s[22:23], vcc, exec
.LBB6_291:                              ;   in Loop: Header=BB6_268 Depth=4
	s_or_b64 exec, exec, s[76:77]
	s_and_saveexec_b64 s[76:77], s[22:23]
	s_cbranch_execz .LBB6_293
; %bb.292:                              ;   in Loop: Header=BB6_268 Depth=4
	v_mul_lo_u32 v0, v41, v60
	v_mul_lo_u32 v1, v40, v36
	v_mad_u64_u32 v[48:49], s[22:23], v40, v60, 0
	v_add3_u32 v49, v49, v1, v0
.LBB6_293:                              ;   in Loop: Header=BB6_268 Depth=4
	s_or_b64 exec, exec, s[76:77]
	v_cmp_eq_u32_e32 vcc, 0, v33
	v_cndmask_b32_e32 v2, v34, v35, vcc
	v_add_co_u32_e32 v0, vcc, v14, v48
	v_addc_co_u32_e32 v1, vcc, v15, v49, vcc
	v_add_u32_e32 v2, v0, v2
	ds_write_b64 v2, v[0:1] offset:584
	v_and_b32_e32 v0, 0x2000, v39
	v_cmp_ne_u32_e32 vcc, 0, v0
	s_and_saveexec_b64 s[22:23], vcc
	s_cbranch_execz .LBB6_295
; %bb.294:                              ;   in Loop: Header=BB6_268 Depth=4
	ds_read_b64 v[0:1], v0 offset:872
	s_waitcnt lgkmcnt(0)
	v_add_co_u32_e32 v0, vcc, 1, v0
	v_addc_co_u32_e32 v1, vcc, 0, v1, vcc
	ds_write_b64 v0, v[0:1] offset:872
.LBB6_295:                              ;   in Loop: Header=BB6_268 Depth=4
	s_or_b64 exec, exec, s[22:23]
	v_mov_b32_e32 v31, v52
	v_mov_b32_e32 v32, v53
.LBB6_296:                              ;   in Loop: Header=BB6_268 Depth=4
	s_or_b64 exec, exec, s[74:75]
	s_and_saveexec_b64 s[22:23], s[6:7]
	s_cbranch_execz .LBB6_315
; %bb.297:                              ;   in Loop: Header=BB6_268 Depth=4
	s_and_saveexec_b64 s[74:75], s[28:29]
	s_xor_b64 s[74:75], exec, s[74:75]
	s_cbranch_execz .LBB6_312
; %bb.298:                              ;   in Loop: Header=BB6_268 Depth=4
	s_and_saveexec_b64 s[76:77], s[12:13]
	s_cbranch_execz .LBB6_311
; %bb.299:                              ;   in Loop: Header=BB6_268 Depth=4
	s_mov_b64 s[88:89], exec
	v_mbcnt_lo_u32_b32 v0, s88, 0
	v_mbcnt_hi_u32_b32 v0, s89, v0
	v_cmp_eq_u32_e32 vcc, 0, v0
	s_waitcnt vmcnt(0) lgkmcnt(0)
	buffer_wbinvl1_vol
	s_and_saveexec_b64 s[78:79], vcc
	s_cbranch_execz .LBB6_301
; %bb.300:                              ;   in Loop: Header=BB6_268 Depth=4
	s_bcnt1_i32_b64 s88, s[88:89]
	v_mov_b32_e32 v0, s88
	v_mov_b32_e32 v1, v12
	ds_add_u64 v0, v[0:1]
	s_trap 2
.LBB6_301:                              ;   in Loop: Header=BB6_268 Depth=4
	s_or_b64 exec, exec, s[78:79]
	s_trap 2
	ds_read_b64 v[0:1], v0
	s_waitcnt lgkmcnt(0)
	v_add_co_u32_e32 v20, vcc, v20, v24
	v_addc_co_u32_e32 v21, vcc, 0, v21, vcc
	v_cmp_lt_u64_e32 vcc, v[0:1], v[20:21]
	s_and_saveexec_b64 s[78:79], vcc
	s_cbranch_execz .LBB6_310
; %bb.302:                              ;   in Loop: Header=BB6_268 Depth=4
	s_mov_b32 s34, 0
	s_mov_b64 s[88:89], 0
                                        ; implicit-def: $sgpr90_sgpr91
                                        ; implicit-def: $sgpr92_sgpr93
	s_branch .LBB6_304
.LBB6_303:                              ;   in Loop: Header=BB6_304 Depth=5
	s_or_b64 exec, exec, s[30:31]
	s_and_b64 s[94:95], exec, vcc
	s_or_b64 s[88:89], s[94:95], s[88:89]
	s_andn2_b64 s[90:91], s[90:91], exec
	s_and_b64 s[94:95], s[92:93], exec
	s_or_b64 s[90:91], s[90:91], s[94:95]
	s_andn2_b64 exec, exec, s[88:89]
	s_cbranch_execz .LBB6_308
.LBB6_304:                              ;   Parent Loop BB6_53 Depth=1
                                        ;     Parent Loop BB6_89 Depth=2
                                        ;       Parent Loop BB6_265 Depth=3
                                        ;         Parent Loop BB6_268 Depth=4
                                        ; =>        This Inner Loop Header: Depth=5
	s_add_i32 s34, s34, 1
	s_cmpk_lg_i32 s34, 0x2710
	s_cselect_b64 s[94:95], -1, 0
	s_and_b64 vcc, exec, s[94:95]
	s_cbranch_vccz .LBB6_306
; %bb.305:                              ;   in Loop: Header=BB6_304 Depth=5
	s_mov_b64 vcc, -1
	s_or_b64 s[92:93], s[92:93], exec
	s_and_saveexec_b64 s[30:31], s[94:95]
	s_cbranch_execz .LBB6_303
	s_branch .LBB6_307
.LBB6_306:                              ;   in Loop: Header=BB6_304 Depth=5
	s_trap 2
	ds_read_b64 v[0:1], v0
	s_andn2_b64 s[94:95], s[94:95], exec
	s_mov_b32 s34, 0
	s_waitcnt lgkmcnt(0)
	flat_load_dword v0, v[0:1] glc
	s_waitcnt vmcnt(0) lgkmcnt(0)
	buffer_wbinvl1_vol
	v_cmp_eq_u32_e32 vcc, 0, v0
	s_and_b64 vcc, vcc, exec
	s_or_b64 s[94:95], s[94:95], vcc
	s_mov_b64 vcc, -1
	s_or_b64 s[92:93], s[92:93], exec
	s_and_saveexec_b64 s[30:31], s[94:95]
	s_cbranch_execz .LBB6_303
.LBB6_307:                              ;   in Loop: Header=BB6_304 Depth=5
	s_sleep 1
	s_trap 2
	ds_read_b64 v[0:1], v0
	s_waitcnt lgkmcnt(0)
	s_andn2_b64 s[92:93], s[92:93], exec
	v_cmp_ge_u64_e32 vcc, v[0:1], v[20:21]
	s_orn2_b64 vcc, vcc, exec
	s_branch .LBB6_303
.LBB6_308:                              ;   in Loop: Header=BB6_268 Depth=4
	s_or_b64 exec, exec, s[88:89]
	s_and_saveexec_b64 s[88:89], s[90:91]
	s_xor_b64 s[88:89], exec, s[88:89]
	s_cbranch_execz .LBB6_310
; %bb.309:                              ;   in Loop: Header=BB6_268 Depth=4
	ds_write_b32 v0, v29
	s_trap 2
.LBB6_310:                              ;   in Loop: Header=BB6_268 Depth=4
	s_or_b64 exec, exec, s[78:79]
	;;#ASMSTART
	s_wakeup
	;;#ASMEND
.LBB6_311:                              ;   in Loop: Header=BB6_268 Depth=4
	s_or_b64 exec, exec, s[76:77]
.LBB6_312:                              ;   in Loop: Header=BB6_268 Depth=4
	s_andn2_saveexec_b64 s[74:75], s[74:75]
	s_cbranch_execz .LBB6_314
; %bb.313:                              ;   in Loop: Header=BB6_268 Depth=4
	s_waitcnt vmcnt(0) lgkmcnt(0)
	buffer_wbinvl1_vol
	s_barrier
.LBB6_314:                              ;   in Loop: Header=BB6_268 Depth=4
	s_or_b64 exec, exec, s[74:75]
.LBB6_315:                              ;   in Loop: Header=BB6_268 Depth=4
	s_or_b64 exec, exec, s[22:23]
	s_trap 2
	ds_read_b32 v9, v0
	v_and_b32_e32 v0, 0x4000, v39
	v_cmp_ne_u32_e32 vcc, 0, v0
	s_xor_b64 s[22:23], s[16:17], -1
	s_and_b64 s[74:75], s[22:23], vcc
	s_and_saveexec_b64 s[22:23], s[74:75]
	s_cbranch_execz .LBB6_334
; %bb.316:                              ;   in Loop: Header=BB6_268 Depth=4
	s_and_saveexec_b64 s[74:75], s[28:29]
	s_xor_b64 s[74:75], exec, s[74:75]
	s_cbranch_execz .LBB6_331
; %bb.317:                              ;   in Loop: Header=BB6_268 Depth=4
	s_and_saveexec_b64 s[76:77], s[12:13]
	s_cbranch_execz .LBB6_330
; %bb.318:                              ;   in Loop: Header=BB6_268 Depth=4
	s_mov_b64 s[88:89], exec
	v_mbcnt_lo_u32_b32 v0, s88, 0
	v_mbcnt_hi_u32_b32 v0, s89, v0
	v_cmp_eq_u32_e32 vcc, 0, v0
	s_waitcnt vmcnt(0) lgkmcnt(0)
	buffer_wbinvl1_vol
	s_and_saveexec_b64 s[78:79], vcc
	s_cbranch_execz .LBB6_320
; %bb.319:                              ;   in Loop: Header=BB6_268 Depth=4
	s_bcnt1_i32_b64 s88, s[88:89]
	v_mov_b32_e32 v0, s88
	v_mov_b32_e32 v1, v12
	ds_add_u64 v0, v[0:1]
	s_trap 2
.LBB6_320:                              ;   in Loop: Header=BB6_268 Depth=4
	s_or_b64 exec, exec, s[78:79]
	s_trap 2
	ds_read_b64 v[0:1], v0
	s_waitcnt lgkmcnt(0)
	v_add_co_u32_e32 v20, vcc, v20, v24
	v_addc_co_u32_e32 v21, vcc, 0, v21, vcc
	v_cmp_lt_u64_e32 vcc, v[0:1], v[20:21]
	s_and_saveexec_b64 s[78:79], vcc
	s_cbranch_execz .LBB6_329
; %bb.321:                              ;   in Loop: Header=BB6_268 Depth=4
	s_mov_b32 s34, 0
	s_mov_b64 s[88:89], 0
                                        ; implicit-def: $sgpr90_sgpr91
                                        ; implicit-def: $sgpr92_sgpr93
	s_branch .LBB6_323
.LBB6_322:                              ;   in Loop: Header=BB6_323 Depth=5
	s_or_b64 exec, exec, s[30:31]
	s_and_b64 s[94:95], exec, vcc
	s_or_b64 s[88:89], s[94:95], s[88:89]
	s_andn2_b64 s[90:91], s[90:91], exec
	s_and_b64 s[94:95], s[92:93], exec
	s_or_b64 s[90:91], s[90:91], s[94:95]
	s_andn2_b64 exec, exec, s[88:89]
	s_cbranch_execz .LBB6_327
.LBB6_323:                              ;   Parent Loop BB6_53 Depth=1
                                        ;     Parent Loop BB6_89 Depth=2
                                        ;       Parent Loop BB6_265 Depth=3
                                        ;         Parent Loop BB6_268 Depth=4
                                        ; =>        This Inner Loop Header: Depth=5
	s_add_i32 s34, s34, 1
	s_cmpk_lg_i32 s34, 0x2710
	s_cselect_b64 s[94:95], -1, 0
	s_and_b64 vcc, exec, s[94:95]
	s_cbranch_vccz .LBB6_325
; %bb.324:                              ;   in Loop: Header=BB6_323 Depth=5
	s_mov_b64 vcc, -1
	s_or_b64 s[92:93], s[92:93], exec
	s_and_saveexec_b64 s[30:31], s[94:95]
	s_cbranch_execz .LBB6_322
	s_branch .LBB6_326
.LBB6_325:                              ;   in Loop: Header=BB6_323 Depth=5
	s_trap 2
	ds_read_b64 v[0:1], v0
	s_andn2_b64 s[94:95], s[94:95], exec
	s_mov_b32 s34, 0
	s_waitcnt lgkmcnt(0)
	flat_load_dword v0, v[0:1] glc
	s_waitcnt vmcnt(0) lgkmcnt(0)
	buffer_wbinvl1_vol
	v_cmp_eq_u32_e32 vcc, 0, v0
	s_and_b64 vcc, vcc, exec
	s_or_b64 s[94:95], s[94:95], vcc
	s_mov_b64 vcc, -1
	s_or_b64 s[92:93], s[92:93], exec
	s_and_saveexec_b64 s[30:31], s[94:95]
	s_cbranch_execz .LBB6_322
.LBB6_326:                              ;   in Loop: Header=BB6_323 Depth=5
	s_sleep 1
	s_trap 2
	ds_read_b64 v[0:1], v0
	s_waitcnt lgkmcnt(0)
	s_andn2_b64 s[92:93], s[92:93], exec
	v_cmp_ge_u64_e32 vcc, v[0:1], v[20:21]
	s_orn2_b64 vcc, vcc, exec
	s_branch .LBB6_322
.LBB6_327:                              ;   in Loop: Header=BB6_268 Depth=4
	s_or_b64 exec, exec, s[88:89]
	s_and_saveexec_b64 s[88:89], s[90:91]
	s_xor_b64 s[88:89], exec, s[88:89]
	s_cbranch_execz .LBB6_329
; %bb.328:                              ;   in Loop: Header=BB6_268 Depth=4
	ds_write_b32 v0, v29
	s_trap 2
.LBB6_329:                              ;   in Loop: Header=BB6_268 Depth=4
	s_or_b64 exec, exec, s[78:79]
	;;#ASMSTART
	s_wakeup
	;;#ASMEND
.LBB6_330:                              ;   in Loop: Header=BB6_268 Depth=4
	s_or_b64 exec, exec, s[76:77]
.LBB6_331:                              ;   in Loop: Header=BB6_268 Depth=4
	s_andn2_saveexec_b64 s[74:75], s[74:75]
	s_cbranch_execz .LBB6_333
; %bb.332:                              ;   in Loop: Header=BB6_268 Depth=4
	s_waitcnt vmcnt(0) lgkmcnt(0)
	buffer_wbinvl1_vol
	s_barrier
.LBB6_333:                              ;   in Loop: Header=BB6_268 Depth=4
	s_or_b64 exec, exec, s[74:75]
.LBB6_334:                              ;   in Loop: Header=BB6_268 Depth=4
	s_or_b64 exec, exec, s[22:23]
	s_trap 2
	ds_read_b64 v[52:53], v0
	s_waitcnt lgkmcnt(0)
	v_cmp_eq_u64_e32 vcc, 0, v[52:53]
	s_cbranch_vccnz .LBB6_342
; %bb.335:                              ;   in Loop: Header=BB6_268 Depth=4
	s_trap 2
	ds_read_b64 v[54:55], v0
	s_waitcnt lgkmcnt(0)
	v_cmp_eq_u64_e32 vcc, 0, v[54:55]
	s_cbranch_vccnz .LBB6_342
; %bb.336:                              ;   in Loop: Header=BB6_268 Depth=4
	s_mov_b64 s[22:23], -1
	s_and_saveexec_b64 s[74:75], s[14:15]
	s_cbranch_execz .LBB6_338
; %bb.337:                              ;   in Loop: Header=BB6_268 Depth=4
	ds_read_b32 v0, v0 offset:720
	s_waitcnt lgkmcnt(0)
	v_and_b32_e32 v0, 15, v0
	v_cmp_eq_u32_e32 vcc, 0, v0
	s_orn2_b64 s[22:23], vcc, exec
.LBB6_338:                              ;   in Loop: Header=BB6_268 Depth=4
	s_or_b64 exec, exec, s[74:75]
	s_and_saveexec_b64 s[74:75], s[14:15]
	s_cbranch_execz .LBB6_340
; %bb.339:                              ;   in Loop: Header=BB6_268 Depth=4
	ds_read_b32 v0, v0 offset:784
	s_waitcnt lgkmcnt(0)
	v_and_b32_e32 v0, 15, v0
	v_cmp_eq_u32_e32 vcc, 0, v0
	s_and_b64 s[76:77], s[22:23], vcc
	s_andn2_b64 s[22:23], s[22:23], exec
	s_and_b64 s[76:77], s[76:77], exec
	s_or_b64 s[22:23], s[22:23], s[76:77]
.LBB6_340:                              ;   in Loop: Header=BB6_268 Depth=4
	s_or_b64 exec, exec, s[74:75]
	buffer_load_dword v41, off, s[0:3], s33 offset:60 ; 4-byte Folded Reload
	v_cmp_eq_u32_e32 vcc, 0, v9
	s_xor_b64 s[22:23], s[22:23], -1
	v_cndmask_b32_e32 v9, 0, v8, vcc
	v_cndmask_b32_e64 v0, 0, 1, s[22:23]
	s_mov_b64 s[76:77], -1
	v_cmp_ne_u32_e32 vcc, 0, v0
	v_mov_b32_e32 v33, 0
	v_mov_b32_e32 v40, v9
	;; [unrolled: 1-line block ×3, first 2 shown]
	s_cbranch_vccz .LBB6_343
; %bb.341:                              ;   in Loop: Header=BB6_268 Depth=4
	s_and_saveexec_b64 s[22:23], s[76:77]
	s_cbranch_execnz .LBB6_356
	s_branch .LBB6_364
.LBB6_342:                              ;   in Loop: Header=BB6_268 Depth=4
	s_mov_b64 s[22:23], 0
	s_and_saveexec_b64 s[74:75], s[6:7]
	s_cbranch_execnz .LBB6_365
	s_branch .LBB6_383
.LBB6_343:                              ;   in Loop: Header=BB6_268 Depth=4
	v_ashrrev_i32_e32 v0, 31, v9
	v_lshrrev_b32_e32 v0, 19, v0
	v_add_u32_e32 v0, v9, v0
	v_ashrrev_i32_e32 v33, 13, v0
	v_sub_u32_e32 v46, v33, v27
	v_cmp_lt_i32_e32 vcc, 0, v46
	s_and_saveexec_b64 s[74:75], vcc
	s_cbranch_execz .LBB6_347
; %bb.344:                              ;   in Loop: Header=BB6_268 Depth=4
	s_waitcnt vmcnt(0)
	v_mov_b32_e32 v40, v54
	v_mov_b32_e32 v42, v52
	;; [unrolled: 1-line block ×3, first 2 shown]
	s_mov_b64 s[76:77], 0
	v_mov_b32_e32 v41, v55
	v_mov_b32_e32 v43, v53
	v_ashrrev_i32_e32 v62, 31, v38
	v_lshlrev_b32_e32 v44, 13, v24
	buffer_store_dword v20, off, s[0:3], s33 offset:132 ; 4-byte Folded Spill
	s_nop 0
	buffer_store_dword v21, off, s[0:3], s33 offset:136 ; 4-byte Folded Spill
.LBB6_345:                              ;   Parent Loop BB6_53 Depth=1
                                        ;     Parent Loop BB6_89 Depth=2
                                        ;       Parent Loop BB6_265 Depth=3
                                        ;         Parent Loop BB6_268 Depth=4
                                        ; =>        This Inner Loop Header: Depth=5
	v_add_co_u32_e32 v10, vcc, v38, v42
	v_addc_co_u32_e32 v11, vcc, v62, v43, vcc
	global_load_dwordx4 v[0:3], v[10:11], off glc slc
	global_load_dwordx4 v[4:7], v[10:11], off offset:1024 glc slc
	global_load_dwordx4 v[18:21], v[10:11], off offset:2048 glc slc
	;; [unrolled: 1-line block ×3, first 2 shown]
	v_add_co_u32_e32 v10, vcc, s54, v10
	v_addc_co_u32_e32 v11, vcc, 0, v11, vcc
	global_load_dwordx4 v[34:37], v[10:11], off glc slc
	global_load_dwordx4 v[48:51], v[10:11], off offset:1024 glc slc
	global_load_dwordx4 v[56:59], v[10:11], off offset:2048 glc slc
	s_nop 0
	global_load_dwordx4 v[10:13], v[10:11], off offset:3072 glc slc
	v_add_co_u32_e32 v60, vcc, v38, v40
	v_addc_co_u32_e32 v61, vcc, v62, v41, vcc
	v_add_co_u32_e32 v42, vcc, v42, v44
	v_addc_co_u32_e32 v43, vcc, 0, v43, vcc
	v_sub_u32_e32 v46, v46, v24
	v_add_co_u32_e32 v40, vcc, v40, v44
	v_addc_co_u32_e32 v41, vcc, 0, v41, vcc
	v_cmp_gt_i32_e64 s[22:23], 1, v46
	v_add_co_u32_e32 v14, vcc, s54, v60
	s_or_b64 s[76:77], s[22:23], s[76:77]
	v_addc_co_u32_e32 v15, vcc, 0, v61, vcc
	s_waitcnt vmcnt(7)
	global_store_dwordx4 v[60:61], v[0:3], off glc slc
	s_waitcnt vmcnt(7)
	global_store_dwordx4 v[60:61], v[4:7], off offset:1024 glc slc
	s_waitcnt vmcnt(7)
	global_store_dwordx4 v[60:61], v[18:21], off offset:2048 glc slc
	;; [unrolled: 2-line block ×3, first 2 shown]
	s_waitcnt vmcnt(7)
	global_store_dwordx4 v[14:15], v[34:37], off glc slc
	s_waitcnt vmcnt(7)
	global_store_dwordx4 v[14:15], v[48:51], off offset:1024 glc slc
	s_waitcnt vmcnt(7)
	global_store_dwordx4 v[14:15], v[56:59], off offset:2048 glc slc
	;; [unrolled: 2-line block ×3, first 2 shown]
	s_andn2_b64 exec, exec, s[76:77]
	s_cbranch_execnz .LBB6_345
; %bb.346:                              ;   in Loop: Header=BB6_268 Depth=4
	s_or_b64 exec, exec, s[76:77]
	buffer_load_dword v4, off, s[0:3], s33 offset:64 ; 4-byte Folded Reload
	buffer_load_dword v5, off, s[0:3], s33 offset:68 ; 4-byte Folded Reload
	;; [unrolled: 1-line block ×15, first 2 shown]
	v_mov_b32_e32 v12, v47
	v_lshlrev_b32_e32 v44, 10, v24
	v_mov_b32_e32 v29, 1
	v_mov_b32_e32 v34, 0xc8
	;; [unrolled: 1-line block ×3, first 2 shown]
.LBB6_347:                              ;   in Loop: Header=BB6_268 Depth=4
	s_or_b64 exec, exec, s[74:75]
	v_lshlrev_b32_e32 v42, 13, v33
	v_cmp_ne_u32_e32 vcc, v9, v42
	s_mov_b64 s[76:77], 0
	v_mov_b32_e32 v33, 0
                                        ; implicit-def: $vgpr40
                                        ; implicit-def: $vgpr41
                                        ; implicit-def: $vgpr47
	s_and_saveexec_b64 s[74:75], vcc
	s_cbranch_execz .LBB6_355
; %bb.348:                              ;   in Loop: Header=BB6_268 Depth=4
	buffer_load_dword v2, off, s[0:3], s33 offset:164 ; 4-byte Folded Reload
	v_lshlrev_b32_e32 v1, 6, v46
	v_sub_u32_e32 v0, v9, v42
	s_waitcnt vmcnt(0)
	v_sub_u32_e32 v1, v2, v1
	v_ashrrev_i32_e32 v2, 31, v1
	v_lshrrev_b32_e32 v2, 26, v2
	v_add_u32_e32 v2, v1, v2
	v_ashrrev_i32_e32 v3, 6, v2
	v_and_b32_e32 v2, 0xffffffc0, v2
	v_sub_u32_e32 v43, v1, v2
	v_lshlrev_b32_e32 v1, 4, v43
	v_lshl_add_u32 v40, v3, 10, v1
	v_ashrrev_i32_e32 v1, 31, v0
	v_lshrrev_b32_e32 v1, 22, v1
	v_add_u32_e32 v1, v0, v1
	v_and_b32_e32 v46, 0xfffffc00, v1
	v_sub_u32_e32 v57, v0, v46
	v_ashrrev_i32_e32 v2, 10, v1
	v_cmp_lt_i32_e32 vcc, 15, v57
	v_sub_u32_e32 v33, v0, v40
	v_addc_co_u32_e64 v0, s[22:23], 0, v2, vcc
	v_sub_u32_e32 v56, v0, v3
	v_cmp_lt_i32_e64 s[22:23], 15, v33
	s_and_saveexec_b64 s[76:77], s[22:23]
	s_cbranch_execz .LBB6_352
; %bb.349:                              ;   in Loop: Header=BB6_268 Depth=4
	v_add_u32_e32 v40, v40, v42
	v_ashrrev_i32_e32 v41, 31, v40
	s_mov_b64 s[78:79], 0
.LBB6_350:                              ;   Parent Loop BB6_53 Depth=1
                                        ;     Parent Loop BB6_89 Depth=2
                                        ;       Parent Loop BB6_265 Depth=3
                                        ;         Parent Loop BB6_268 Depth=4
                                        ; =>        This Inner Loop Header: Depth=5
	v_add_co_u32_e64 v0, s[22:23], v52, v40
	v_addc_co_u32_e64 v1, s[22:23], v53, v41, s[22:23]
	global_load_dwordx4 v[0:3], v[0:1], off glc slc
	v_add_co_u32_e64 v4, s[22:23], v54, v40
	v_addc_co_u32_e64 v5, s[22:23], v55, v41, s[22:23]
	v_add_co_u32_e64 v40, s[22:23], v40, v44
	v_sub_u32_e32 v33, v33, v44
	v_addc_co_u32_e64 v41, s[22:23], 0, v41, s[22:23]
	v_cmp_gt_i32_e64 s[22:23], 16, v33
	v_sub_u32_e32 v56, v56, v24
	s_or_b64 s[78:79], s[22:23], s[78:79]
	s_waitcnt vmcnt(0)
	global_store_dwordx4 v[4:5], v[0:3], off glc slc
	s_andn2_b64 exec, exec, s[78:79]
	s_cbranch_execnz .LBB6_350
; %bb.351:                              ;   in Loop: Header=BB6_268 Depth=4
	s_or_b64 exec, exec, s[78:79]
	buffer_load_dword v4, off, s[0:3], s33 offset:64 ; 4-byte Folded Reload
	buffer_load_dword v5, off, s[0:3], s33 offset:68 ; 4-byte Folded Reload
	;; [unrolled: 1-line block ×4, first 2 shown]
.LBB6_352:                              ;   in Loop: Header=BB6_268 Depth=4
	s_or_b64 exec, exec, s[76:77]
	v_and_b32_e32 v58, 15, v9
	v_cndmask_b32_e32 v40, v57, v58, vcc
	v_mov_b32_e32 v33, 0
	v_cmp_ne_u32_e64 s[22:23], 0, v40
	s_mov_b64 s[78:79], 0
                                        ; implicit-def: $vgpr41
                                        ; implicit-def: $vgpr47
	s_and_saveexec_b64 s[76:77], s[22:23]
	s_cbranch_execz .LBB6_354
; %bb.353:                              ;   in Loop: Header=BB6_268 Depth=4
	v_sub_u32_e32 v0, v57, v58
	v_cndmask_b32_e32 v0, 0, v0, vcc
	v_cmp_lt_i32_e32 vcc, 0, v56
	v_add3_u32 v33, v46, v42, v0
	v_cndmask_b32_e32 v0, 0, v24, vcc
	v_sub_u32_e32 v0, v0, v56
	v_lshl_add_u32 v41, v0, 6, v43
	v_ashrrev_i32_e32 v0, 31, v41
	v_lshrrev_b32_e32 v0, 26, v0
	v_add_u32_e32 v0, v41, v0
	v_ashrrev_i32_e32 v47, 6, v0
	s_mov_b64 s[78:79], exec
.LBB6_354:                              ;   in Loop: Header=BB6_268 Depth=4
	s_or_b64 exec, exec, s[76:77]
	s_and_b64 s[76:77], s[78:79], exec
.LBB6_355:                              ;   in Loop: Header=BB6_268 Depth=4
	s_or_b64 exec, exec, s[74:75]
	s_and_saveexec_b64 s[22:23], s[76:77]
	s_cbranch_execz .LBB6_364
.LBB6_356:                              ;   in Loop: Header=BB6_268 Depth=4
	v_ashrrev_i32_e32 v0, 31, v40
	v_lshrrev_b32_e32 v0, 21, v0
	v_add_u32_e32 v0, v40, v0
	v_ashrrev_i32_e32 v46, 11, v0
	v_sub_u32_e32 v42, v46, v47
	s_waitcnt vmcnt(0)
	v_ashrrev_i32_e32 v0, 31, v41
	v_cmp_lt_i32_e32 vcc, 0, v42
	v_lshrrev_b32_e32 v43, 26, v0
	s_and_saveexec_b64 s[74:75], vcc
	s_cbranch_execz .LBB6_360
; %bb.357:                              ;   in Loop: Header=BB6_268 Depth=4
	v_add_u32_e32 v0, v41, v43
	v_and_b32_e32 v0, 0xffffffc0, v0
	v_sub_u32_e32 v0, v41, v0
	v_lshlrev_b32_e32 v1, 11, v47
	v_mov_b32_e32 v62, v21
	v_add3_u32 v47, v33, v0, v1
	v_mov_b32_e32 v61, v20
	v_ashrrev_i32_e32 v56, 31, v47
	s_mov_b64 s[76:77], 0
	buffer_store_dword v12, off, s[0:3], s33 offset:80 ; 4-byte Folded Spill
	s_nop 0
	buffer_store_dword v13, off, s[0:3], s33 offset:84 ; 4-byte Folded Spill
.LBB6_358:                              ;   Parent Loop BB6_53 Depth=1
                                        ;     Parent Loop BB6_89 Depth=2
                                        ;       Parent Loop BB6_265 Depth=3
                                        ;         Parent Loop BB6_268 Depth=4
                                        ; =>        This Inner Loop Header: Depth=5
	v_add_co_u32_e32 v0, vcc, v47, v52
	v_addc_co_u32_e32 v1, vcc, v56, v53, vcc
	flat_load_ubyte v2, v[0:1] glc slc
	flat_load_ubyte v3, v[0:1] offset:64 glc slc
	flat_load_ubyte v4, v[0:1] offset:128 glc slc
	flat_load_ubyte v5, v[0:1] offset:192 glc slc
	flat_load_ubyte v6, v[0:1] offset:256 glc slc
	flat_load_ubyte v7, v[0:1] offset:320 glc slc
	flat_load_ubyte v10, v[0:1] offset:384 glc slc
	flat_load_ubyte v11, v[0:1] offset:448 glc slc
	flat_load_ubyte v12, v[0:1] offset:512 glc slc
	flat_load_ubyte v13, v[0:1] offset:576 glc slc
	flat_load_ubyte v14, v[0:1] offset:640 glc slc
	flat_load_ubyte v15, v[0:1] offset:704 glc slc
	flat_load_ubyte v18, v[0:1] offset:768 glc slc
	flat_load_ubyte v19, v[0:1] offset:832 glc slc
	flat_load_ubyte v20, v[0:1] offset:896 glc slc
	flat_load_ubyte v21, v[0:1] offset:960 glc slc
	flat_load_ubyte v27, v[0:1] offset:1024 glc slc
	flat_load_ubyte v28, v[0:1] offset:1088 glc slc
	flat_load_ubyte v29, v[0:1] offset:1152 glc slc
	flat_load_ubyte v30, v[0:1] offset:1216 glc slc
	flat_load_ubyte v34, v[0:1] offset:1280 glc slc
	flat_load_ubyte v35, v[0:1] offset:1344 glc slc
	flat_load_ubyte v36, v[0:1] offset:1408 glc slc
	flat_load_ubyte v37, v[0:1] offset:1472 glc slc
	flat_load_ubyte v48, v[0:1] offset:1536 glc slc
	flat_load_ubyte v49, v[0:1] offset:1600 glc slc
	flat_load_ubyte v50, v[0:1] offset:1664 glc slc
	flat_load_ubyte v51, v[0:1] offset:1728 glc slc
	flat_load_ubyte v57, v[0:1] offset:1792 glc slc
	flat_load_ubyte v58, v[0:1] offset:1856 glc slc
	flat_load_ubyte v59, v[0:1] offset:1920 glc slc
	flat_load_ubyte v60, v[0:1] offset:1984 glc slc
	v_add_co_u32_e32 v0, vcc, v47, v54
	v_addc_co_u32_e32 v1, vcc, v56, v55, vcc
	v_add_co_u32_e32 v52, vcc, v52, v26
	v_addc_co_u32_e32 v53, vcc, 0, v53, vcc
	v_add_co_u32_e32 v54, vcc, v54, v26
	v_sub_u32_e32 v42, v42, v24
	v_addc_co_u32_e32 v55, vcc, 0, v55, vcc
	v_cmp_gt_i32_e32 vcc, 1, v42
	s_or_b64 s[76:77], vcc, s[76:77]
	s_waitcnt vmcnt(0) lgkmcnt(0)
	flat_store_byte v[0:1], v2 glc slc
	flat_store_byte v[0:1], v3 offset:64 glc slc
	flat_store_byte v[0:1], v4 offset:128 glc slc
	;; [unrolled: 1-line block ×31, first 2 shown]
	s_andn2_b64 exec, exec, s[76:77]
	s_cbranch_execnz .LBB6_358
; %bb.359:                              ;   in Loop: Header=BB6_268 Depth=4
	s_or_b64 exec, exec, s[76:77]
	buffer_load_dword v4, off, s[0:3], s33 offset:64 ; 4-byte Folded Reload
	buffer_load_dword v5, off, s[0:3], s33 offset:68 ; 4-byte Folded Reload
	;; [unrolled: 1-line block ×15, first 2 shown]
	v_mov_b32_e32 v20, v61
	v_mov_b32_e32 v21, v62
	;; [unrolled: 1-line block ×5, first 2 shown]
.LBB6_360:                              ;   in Loop: Header=BB6_268 Depth=4
	s_or_b64 exec, exec, s[74:75]
	v_lshlrev_b32_e32 v52, 11, v46
	v_cmp_ne_u32_e32 vcc, v40, v52
	s_and_b64 exec, exec, vcc
	s_cbranch_execz .LBB6_364
; %bb.361:                              ;   in Loop: Header=BB6_268 Depth=4
	v_add_u32_e32 v0, v41, v43
	v_and_b32_e32 v0, 0xffffffc0, v0
	v_sub_u32_e32 v0, v41, v0
	v_lshlrev_b32_e32 v1, 6, v42
	v_sub_u32_e32 v0, v0, v1
	v_add_u32_e32 v52, v52, v0
	v_sub_u32_e32 v54, v40, v52
	v_cmp_lt_i32_e32 vcc, 0, v54
	s_and_b64 exec, exec, vcc
	s_cbranch_execz .LBB6_364
; %bb.362:                              ;   in Loop: Header=BB6_268 Depth=4
	v_add_u32_e32 v33, v52, v33
	s_trap 2
	ds_read_b64 v[52:53], v0
	v_ashrrev_i32_e32 v55, 31, v33
	s_mov_b64 s[74:75], 0
.LBB6_363:                              ;   Parent Loop BB6_53 Depth=1
                                        ;     Parent Loop BB6_89 Depth=2
                                        ;       Parent Loop BB6_265 Depth=3
                                        ;         Parent Loop BB6_268 Depth=4
                                        ; =>        This Inner Loop Header: Depth=5
	s_waitcnt lgkmcnt(0)
	v_add_co_u32_e32 v0, vcc, v52, v33
	v_addc_co_u32_e32 v1, vcc, v53, v55, vcc
	flat_load_ubyte v2, v[0:1] glc slc
	s_waitcnt vmcnt(0)
	v_add_co_u32_e32 v33, vcc, v33, v30
	v_sub_u32_e32 v54, v54, v30
	v_addc_co_u32_e32 v55, vcc, 0, v55, vcc
	v_cmp_gt_i32_e32 vcc, 1, v54
	s_or_b64 s[74:75], vcc, s[74:75]
	s_waitcnt lgkmcnt(0)
	flat_store_byte v[0:1], v2 glc slc
	s_andn2_b64 exec, exec, s[74:75]
	s_cbranch_execnz .LBB6_363
.LBB6_364:                              ;   in Loop: Header=BB6_268 Depth=4
	s_or_b64 exec, exec, s[22:23]
	v_cmp_lt_i32_e64 s[22:23], 0, v9
	s_and_saveexec_b64 s[74:75], s[6:7]
	s_cbranch_execz .LBB6_383
.LBB6_365:                              ;   in Loop: Header=BB6_268 Depth=4
	s_and_saveexec_b64 s[76:77], s[28:29]
	s_xor_b64 s[76:77], exec, s[76:77]
	s_cbranch_execz .LBB6_380
; %bb.366:                              ;   in Loop: Header=BB6_268 Depth=4
	s_and_saveexec_b64 s[78:79], s[12:13]
	s_cbranch_execz .LBB6_379
; %bb.367:                              ;   in Loop: Header=BB6_268 Depth=4
	s_mov_b64 s[90:91], exec
	v_mbcnt_lo_u32_b32 v0, s90, 0
	v_mbcnt_hi_u32_b32 v0, s91, v0
	v_cmp_eq_u32_e32 vcc, 0, v0
	s_waitcnt vmcnt(0) lgkmcnt(0)
	buffer_wbinvl1_vol
	s_and_saveexec_b64 s[88:89], vcc
	s_cbranch_execz .LBB6_369
; %bb.368:                              ;   in Loop: Header=BB6_268 Depth=4
	s_bcnt1_i32_b64 s90, s[90:91]
	v_mov_b32_e32 v0, s90
	v_mov_b32_e32 v1, v12
	ds_add_u64 v0, v[0:1]
	s_trap 2
.LBB6_369:                              ;   in Loop: Header=BB6_268 Depth=4
	s_or_b64 exec, exec, s[88:89]
	s_trap 2
	ds_read_b64 v[0:1], v0
	s_waitcnt lgkmcnt(0)
	v_add_co_u32_e32 v20, vcc, v20, v24
	v_addc_co_u32_e32 v21, vcc, 0, v21, vcc
	v_cmp_lt_u64_e32 vcc, v[0:1], v[20:21]
	s_and_saveexec_b64 s[88:89], vcc
	s_cbranch_execz .LBB6_378
; %bb.370:                              ;   in Loop: Header=BB6_268 Depth=4
	s_mov_b32 s36, 0
	s_mov_b64 s[90:91], 0
                                        ; implicit-def: $sgpr92_sgpr93
                                        ; implicit-def: $sgpr94_sgpr95
	s_branch .LBB6_372
.LBB6_371:                              ;   in Loop: Header=BB6_372 Depth=5
	s_or_b64 exec, exec, s[34:35]
	s_and_b64 vcc, exec, vcc
	s_or_b64 s[90:91], vcc, s[90:91]
	s_andn2_b64 s[92:93], s[92:93], exec
	s_and_b64 vcc, s[94:95], exec
	s_or_b64 s[92:93], s[92:93], vcc
	s_andn2_b64 exec, exec, s[90:91]
	s_cbranch_execz .LBB6_376
.LBB6_372:                              ;   Parent Loop BB6_53 Depth=1
                                        ;     Parent Loop BB6_89 Depth=2
                                        ;       Parent Loop BB6_265 Depth=3
                                        ;         Parent Loop BB6_268 Depth=4
                                        ; =>        This Inner Loop Header: Depth=5
	s_add_i32 s36, s36, 1
	s_cmpk_lg_i32 s36, 0x2710
	s_cselect_b64 s[30:31], -1, 0
	s_and_b64 vcc, exec, s[30:31]
	s_cbranch_vccz .LBB6_374
; %bb.373:                              ;   in Loop: Header=BB6_372 Depth=5
	s_mov_b64 vcc, -1
	s_or_b64 s[94:95], s[94:95], exec
	s_and_saveexec_b64 s[34:35], s[30:31]
	s_cbranch_execz .LBB6_371
	s_branch .LBB6_375
.LBB6_374:                              ;   in Loop: Header=BB6_372 Depth=5
	s_trap 2
	ds_read_b64 v[0:1], v0
	s_andn2_b64 s[30:31], s[30:31], exec
	s_mov_b32 s36, 0
	s_waitcnt lgkmcnt(0)
	flat_load_dword v0, v[0:1] glc
	s_waitcnt vmcnt(0) lgkmcnt(0)
	buffer_wbinvl1_vol
	v_cmp_eq_u32_e32 vcc, 0, v0
	s_and_b64 vcc, vcc, exec
	s_or_b64 s[30:31], s[30:31], vcc
	s_mov_b64 vcc, -1
	s_or_b64 s[94:95], s[94:95], exec
	s_and_saveexec_b64 s[34:35], s[30:31]
	s_cbranch_execz .LBB6_371
.LBB6_375:                              ;   in Loop: Header=BB6_372 Depth=5
	s_sleep 1
	s_trap 2
	ds_read_b64 v[0:1], v0
	s_waitcnt lgkmcnt(0)
	s_andn2_b64 s[94:95], s[94:95], exec
	v_cmp_ge_u64_e32 vcc, v[0:1], v[20:21]
	s_orn2_b64 vcc, vcc, exec
	s_branch .LBB6_371
.LBB6_376:                              ;   in Loop: Header=BB6_268 Depth=4
	s_or_b64 exec, exec, s[90:91]
	s_and_saveexec_b64 s[90:91], s[92:93]
	s_xor_b64 s[90:91], exec, s[90:91]
	s_cbranch_execz .LBB6_378
; %bb.377:                              ;   in Loop: Header=BB6_268 Depth=4
	ds_write_b32 v0, v29
	s_trap 2
.LBB6_378:                              ;   in Loop: Header=BB6_268 Depth=4
	s_or_b64 exec, exec, s[88:89]
	;;#ASMSTART
	s_wakeup
	;;#ASMEND
.LBB6_379:                              ;   in Loop: Header=BB6_268 Depth=4
	s_or_b64 exec, exec, s[78:79]
.LBB6_380:                              ;   in Loop: Header=BB6_268 Depth=4
	s_andn2_saveexec_b64 s[76:77], s[76:77]
	s_cbranch_execz .LBB6_382
; %bb.381:                              ;   in Loop: Header=BB6_268 Depth=4
	s_waitcnt vmcnt(0) lgkmcnt(0)
	buffer_wbinvl1_vol
	s_barrier
.LBB6_382:                              ;   in Loop: Header=BB6_268 Depth=4
	s_or_b64 exec, exec, s[76:77]
.LBB6_383:                              ;   in Loop: Header=BB6_268 Depth=4
	s_or_b64 exec, exec, s[74:75]
	v_and_b32_e32 v9, 16, v39
	v_cmp_ne_u32_e32 vcc, 0, v9
	s_and_b64 s[74:75], vcc, s[22:23]
	s_and_saveexec_b64 s[22:23], s[74:75]
	s_cbranch_execz .LBB6_385
; %bb.384:                              ;   in Loop: Header=BB6_268 Depth=4
	s_waitcnt vmcnt(0) lgkmcnt(0)
	buffer_wbinvl1_vol
.LBB6_385:                              ;   in Loop: Header=BB6_268 Depth=4
	s_or_b64 exec, exec, s[22:23]
	v_cmp_ne_u32_e32 vcc, 0, v9
	s_xor_b64 s[22:23], s[18:19], -1
	s_and_b64 s[74:75], vcc, s[22:23]
	s_and_saveexec_b64 s[22:23], s[74:75]
	s_cbranch_execz .LBB6_387
; %bb.386:                              ;   in Loop: Header=BB6_268 Depth=4
	s_waitcnt vmcnt(0)
	flat_store_dword v[10:11], v29
.LBB6_387:                              ;   in Loop: Header=BB6_268 Depth=4
	s_or_b64 exec, exec, s[22:23]
	v_and_b32_e32 v0, 48, v39
	v_cmp_ne_u32_e32 vcc, 0, v0
	s_and_saveexec_b64 s[22:23], vcc
	s_cbranch_execz .LBB6_267
; %bb.388:                              ;   in Loop: Header=BB6_268 Depth=4
	v_add_co_u32_e32 v31, vcc, 2, v31
	v_addc_co_u32_e32 v32, vcc, 0, v32, vcc
	flat_store_dwordx2 v[16:17], v[31:32]
	s_branch .LBB6_267
.LBB6_389:                              ;   in Loop: Header=BB6_265 Depth=3
	s_or_b64 exec, exec, s[62:63]
.LBB6_390:                              ;   in Loop: Header=BB6_265 Depth=3
	s_or_b64 exec, exec, s[60:61]
	v_cmp_gt_i32_e32 vcc, 2, v9
	s_and_saveexec_b64 s[60:61], vcc
	s_cbranch_execz .LBB6_264
; %bb.391:                              ;   in Loop: Header=BB6_265 Depth=3
	v_cmp_eq_u32_e64 s[72:73], 0, v9
	s_mov_b64 s[62:63], 0
	s_branch .LBB6_393
.LBB6_392:                              ;   in Loop: Header=BB6_393 Depth=4
	s_or_b64 exec, exec, s[22:23]
	v_add_u32_e32 v45, v8, v45
	s_mov_b64 s[72:73], 0
	s_andn2_b64 exec, exec, s[62:63]
	s_cbranch_execz .LBB6_263
.LBB6_393:                              ;   Parent Loop BB6_53 Depth=1
                                        ;     Parent Loop BB6_89 Depth=2
                                        ;       Parent Loop BB6_265 Depth=3
                                        ; =>      This Loop Header: Depth=4
                                        ;           Child Loop BB6_399 Depth 5
                                        ;           Child Loop BB6_427 Depth 5
	v_sub_u32_e32 v0, v25, v45
	s_waitcnt vmcnt(0)
	v_min_i32_e32 v8, v8, v0
	v_and_b32_e32 v0, 12, v39
	v_cmp_ne_u32_e32 vcc, 0, v0
	s_and_saveexec_b64 s[74:75], vcc
	s_cbranch_execz .LBB6_419
; %bb.394:                              ;   in Loop: Header=BB6_393 Depth=4
	v_and_b32_e32 v33, 8, v39
	v_add_co_u32_e32 v0, vcc, v22, v33
	v_addc_co_u32_e32 v1, vcc, 0, v23, vcc
	v_add_co_u32_e32 v52, vcc, 2, v31
	v_addc_co_u32_e32 v53, vcc, 0, v32, vcc
	v_cmp_lt_u64_e32 vcc, v[0:1], v[52:53]
	s_and_saveexec_b64 s[76:77], vcc
	s_cbranch_execz .LBB6_406
; %bb.395:                              ;   in Loop: Header=BB6_393 Depth=4
	v_and_b32_e32 v0, 64, v39
	s_mov_b32 s65, 0
	v_cmp_eq_u32_e32 vcc, 0, v0
	s_mov_b64 s[78:79], 0
                                        ; implicit-def: $sgpr88_sgpr89
                                        ; implicit-def: $sgpr90_sgpr91
                                        ; implicit-def: $sgpr92_sgpr93
	s_branch .LBB6_399
.LBB6_396:                              ;   in Loop: Header=BB6_399 Depth=5
	s_waitcnt vmcnt(0) lgkmcnt(0)
	v_add_co_u32_e64 v0, s[22:23], v22, v33
	v_addc_co_u32_e64 v1, s[22:23], 0, v23, s[22:23]
	v_cmp_ge_u64_e64 s[22:23], v[0:1], v[52:53]
	s_or_b64 s[34:35], s[34:35], exec
	s_orn2_b64 s[30:31], s[22:23], exec
.LBB6_397:                              ;   in Loop: Header=BB6_399 Depth=5
	s_or_b64 exec, exec, s[38:39]
	s_andn2_b64 s[22:23], s[92:93], exec
	s_and_b64 s[92:93], s[34:35], exec
	s_or_b64 s[92:93], s[22:23], s[92:93]
	s_andn2_b64 s[22:23], s[90:91], exec
	s_and_b64 s[90:91], s[30:31], exec
	s_or_b64 s[90:91], s[22:23], s[90:91]
.LBB6_398:                              ;   in Loop: Header=BB6_399 Depth=5
	s_or_b64 exec, exec, s[94:95]
	s_and_b64 s[22:23], exec, s[90:91]
	s_or_b64 s[78:79], s[22:23], s[78:79]
	s_andn2_b64 s[22:23], s[88:89], exec
	s_and_b64 s[88:89], s[92:93], exec
	s_or_b64 s[88:89], s[22:23], s[88:89]
	s_andn2_b64 exec, exec, s[78:79]
	s_cbranch_execz .LBB6_403
.LBB6_399:                              ;   Parent Loop BB6_53 Depth=1
                                        ;     Parent Loop BB6_89 Depth=2
                                        ;       Parent Loop BB6_265 Depth=3
                                        ;         Parent Loop BB6_393 Depth=4
                                        ; =>        This Inner Loop Header: Depth=5
	s_sleep 1
	s_waitcnt vmcnt(0) lgkmcnt(0)
	flat_load_dwordx2 v[22:23], v[16:17] glc
	s_or_b64 s[92:93], s[92:93], exec
	s_or_b64 s[90:91], s[90:91], exec
                                        ; implicit-def: $vgpr9
	s_and_saveexec_b64 s[94:95], vcc
	s_cbranch_execz .LBB6_398
; %bb.400:                              ;   in Loop: Header=BB6_399 Depth=5
	s_cmpk_lt_i32 s65, 0x270f
	s_cselect_b64 s[36:37], -1, 0
	s_cmpk_gt_i32 s65, 0x270e
	s_mov_b64 s[30:31], -1
	s_cbranch_scc0 .LBB6_402
; %bb.401:                              ;   in Loop: Header=BB6_399 Depth=5
	s_trap 2
	ds_read_b64 v[0:1], v0
	s_andn2_b64 s[36:37], s[36:37], exec
	s_mov_b32 s65, 0
	s_mov_b64 s[34:35], 0
	s_waitcnt vmcnt(0) lgkmcnt(0)
	flat_load_dword v9, v[0:1] glc
	s_waitcnt vmcnt(0) lgkmcnt(0)
	buffer_wbinvl1_vol
	v_cmp_eq_u32_e64 s[22:23], 0, v9
	s_and_b64 s[22:23], s[22:23], exec
	s_or_b64 s[36:37], s[36:37], s[22:23]
	s_and_saveexec_b64 s[38:39], s[36:37]
	s_cbranch_execz .LBB6_397
	s_branch .LBB6_396
.LBB6_402:                              ;   in Loop: Header=BB6_399 Depth=5
	s_add_i32 s65, s65, 1
	s_mov_b64 s[34:35], -1
                                        ; implicit-def: $vgpr9
	s_and_saveexec_b64 s[38:39], s[36:37]
	s_cbranch_execz .LBB6_397
	s_branch .LBB6_396
.LBB6_403:                              ;   in Loop: Header=BB6_393 Depth=4
	s_or_b64 exec, exec, s[78:79]
	s_xor_b64 s[22:23], s[88:89], -1
	s_and_saveexec_b64 s[78:79], s[22:23]
	s_xor_b64 s[22:23], exec, s[78:79]
	s_cbranch_execz .LBB6_405
; %bb.404:                              ;   in Loop: Header=BB6_393 Depth=4
	v_or_b32_e32 v39, 64, v39
	s_waitcnt lgkmcnt(0)
	ds_write_b32 v0, v9
	s_trap 2
.LBB6_405:                              ;   in Loop: Header=BB6_393 Depth=4
	s_or_b64 exec, exec, s[22:23]
.LBB6_406:                              ;   in Loop: Header=BB6_393 Depth=4
	s_or_b64 exec, exec, s[76:77]
	v_and_b32_e32 v0, 0x108, v39
	v_cmp_ne_u32_e32 vcc, s55, v0
	v_and_b32_e32 v40, 7, v31
	;;#ASMSTART
	s_wakeup
	;;#ASMEND
	s_and_saveexec_b64 s[22:23], vcc
	s_xor_b64 s[22:23], exec, s[22:23]
                                        ; implicit-def: $vgpr41
; %bb.407:                              ;   in Loop: Header=BB6_393 Depth=4
	v_mov_b32_e32 v41, v12
; %bb.408:                              ;   in Loop: Header=BB6_393 Depth=4
	s_andn2_saveexec_b64 s[22:23], s[22:23]
	s_cbranch_execz .LBB6_410
; %bb.409:                              ;   in Loop: Header=BB6_393 Depth=4
	v_mad_u64_u32 v[0:1], s[76:77], v40, 24, v[4:5]
	v_mov_b32_e32 v41, v12
	v_ashrrev_i32_e32 v9, 31, v8
	flat_store_dwordx2 v[0:1], v[8:9] offset:8
.LBB6_410:                              ;   in Loop: Header=BB6_393 Depth=4
	s_or_b64 exec, exec, s[22:23]
	v_and_b32_e32 v0, 0x100, v39
	v_cmp_ne_u32_e32 vcc, 0, v0
	s_mov_b64 s[22:23], -1
                                        ; implicit-def: $vgpr48_vgpr49
	s_and_saveexec_b64 s[76:77], vcc
	s_cbranch_execz .LBB6_414
; %bb.411:                              ;   in Loop: Header=BB6_393 Depth=4
	v_mad_u64_u32 v[54:55], s[22:23], v40, 24, v[4:5]
                                        ; implicit-def: $vgpr48_vgpr49
	v_mov_b32_e32 v0, v55
	v_mad_u64_u32 v[0:1], s[22:23], v41, 24, v[0:1]
	v_mov_b32_e32 v55, v0
	flat_load_dword v0, v[54:55]
	s_waitcnt vmcnt(0) lgkmcnt(0)
	v_cmp_ne_u32_e32 vcc, 1, v0
	v_cmp_eq_u32_e64 s[22:23], 1, v0
	s_and_saveexec_b64 s[78:79], s[22:23]
	s_cbranch_execz .LBB6_413
; %bb.412:                              ;   in Loop: Header=BB6_393 Depth=4
	flat_load_dword v48, v[54:55] offset:4 glc
	s_waitcnt vmcnt(0) lgkmcnt(0)
	v_ashrrev_i32_e32 v49, 31, v48
.LBB6_413:                              ;   in Loop: Header=BB6_393 Depth=4
	s_or_b64 exec, exec, s[78:79]
	s_orn2_b64 s[22:23], vcc, exec
.LBB6_414:                              ;   in Loop: Header=BB6_393 Depth=4
	s_or_b64 exec, exec, s[76:77]
	s_and_saveexec_b64 s[76:77], s[22:23]
	s_cbranch_execz .LBB6_416
; %bb.415:                              ;   in Loop: Header=BB6_393 Depth=4
	v_mul_lo_u32 v0, v41, v60
	v_mul_lo_u32 v1, v40, v36
	v_mad_u64_u32 v[48:49], s[22:23], v40, v60, 0
	v_add3_u32 v49, v49, v1, v0
.LBB6_416:                              ;   in Loop: Header=BB6_393 Depth=4
	s_or_b64 exec, exec, s[76:77]
	v_cmp_eq_u32_e32 vcc, 0, v33
	v_cndmask_b32_e32 v2, v34, v35, vcc
	v_add_co_u32_e32 v0, vcc, v14, v48
	v_addc_co_u32_e32 v1, vcc, v15, v49, vcc
	v_add_u32_e32 v2, v0, v2
	ds_write_b64 v2, v[0:1] offset:584
	v_and_b32_e32 v0, 0x2000, v39
	v_cmp_ne_u32_e32 vcc, 0, v0
	s_and_saveexec_b64 s[22:23], vcc
	s_cbranch_execz .LBB6_418
; %bb.417:                              ;   in Loop: Header=BB6_393 Depth=4
	ds_read_b64 v[0:1], v0 offset:872
	s_waitcnt lgkmcnt(0)
	v_add_co_u32_e32 v0, vcc, 1, v0
	v_addc_co_u32_e32 v1, vcc, 0, v1, vcc
	ds_write_b64 v0, v[0:1] offset:872
.LBB6_418:                              ;   in Loop: Header=BB6_393 Depth=4
	s_or_b64 exec, exec, s[22:23]
	v_mov_b32_e32 v31, v52
	v_mov_b32_e32 v32, v53
.LBB6_419:                              ;   in Loop: Header=BB6_393 Depth=4
	s_or_b64 exec, exec, s[74:75]
	s_xor_b64 s[22:23], s[72:73], -1
	s_and_b64 s[22:23], exec, s[22:23]
	s_or_b64 s[62:63], s[22:23], s[62:63]
	s_and_saveexec_b64 s[22:23], s[6:7]
	s_cbranch_execz .LBB6_438
; %bb.420:                              ;   in Loop: Header=BB6_393 Depth=4
	s_and_saveexec_b64 s[72:73], s[28:29]
	s_xor_b64 s[72:73], exec, s[72:73]
	s_cbranch_execz .LBB6_435
; %bb.421:                              ;   in Loop: Header=BB6_393 Depth=4
	s_and_saveexec_b64 s[74:75], s[12:13]
	s_cbranch_execz .LBB6_434
; %bb.422:                              ;   in Loop: Header=BB6_393 Depth=4
	s_mov_b64 s[78:79], exec
	v_mbcnt_lo_u32_b32 v0, s78, 0
	v_mbcnt_hi_u32_b32 v0, s79, v0
	v_cmp_eq_u32_e32 vcc, 0, v0
	s_waitcnt vmcnt(0) lgkmcnt(0)
	buffer_wbinvl1_vol
	s_and_saveexec_b64 s[76:77], vcc
	s_cbranch_execz .LBB6_424
; %bb.423:                              ;   in Loop: Header=BB6_393 Depth=4
	s_bcnt1_i32_b64 s78, s[78:79]
	v_mov_b32_e32 v0, s78
	v_mov_b32_e32 v1, v12
	ds_add_u64 v0, v[0:1]
	s_trap 2
.LBB6_424:                              ;   in Loop: Header=BB6_393 Depth=4
	s_or_b64 exec, exec, s[76:77]
	s_trap 2
	ds_read_b64 v[0:1], v0
	s_waitcnt lgkmcnt(0)
	v_add_co_u32_e32 v20, vcc, v20, v24
	v_addc_co_u32_e32 v21, vcc, 0, v21, vcc
	v_cmp_lt_u64_e32 vcc, v[0:1], v[20:21]
	s_and_saveexec_b64 s[76:77], vcc
	s_cbranch_execz .LBB6_433
; %bb.425:                              ;   in Loop: Header=BB6_393 Depth=4
	s_mov_b32 s30, 0
	s_mov_b64 s[78:79], 0
                                        ; implicit-def: $sgpr88_sgpr89
                                        ; implicit-def: $sgpr90_sgpr91
	s_branch .LBB6_427
.LBB6_426:                              ;   in Loop: Header=BB6_427 Depth=5
	s_or_b64 exec, exec, s[94:95]
	s_and_b64 s[92:93], exec, vcc
	s_or_b64 s[78:79], s[92:93], s[78:79]
	s_andn2_b64 s[88:89], s[88:89], exec
	s_and_b64 s[92:93], s[90:91], exec
	s_or_b64 s[88:89], s[88:89], s[92:93]
	s_andn2_b64 exec, exec, s[78:79]
	s_cbranch_execz .LBB6_431
.LBB6_427:                              ;   Parent Loop BB6_53 Depth=1
                                        ;     Parent Loop BB6_89 Depth=2
                                        ;       Parent Loop BB6_265 Depth=3
                                        ;         Parent Loop BB6_393 Depth=4
                                        ; =>        This Inner Loop Header: Depth=5
	s_add_i32 s30, s30, 1
	s_cmpk_lg_i32 s30, 0x2710
	s_cselect_b64 s[92:93], -1, 0
	s_and_b64 vcc, exec, s[92:93]
	s_cbranch_vccz .LBB6_429
; %bb.428:                              ;   in Loop: Header=BB6_427 Depth=5
	s_mov_b64 vcc, -1
	s_or_b64 s[90:91], s[90:91], exec
	s_and_saveexec_b64 s[94:95], s[92:93]
	s_cbranch_execz .LBB6_426
	s_branch .LBB6_430
.LBB6_429:                              ;   in Loop: Header=BB6_427 Depth=5
	s_trap 2
	ds_read_b64 v[0:1], v0
	s_andn2_b64 s[92:93], s[92:93], exec
	s_mov_b32 s30, 0
	s_waitcnt lgkmcnt(0)
	flat_load_dword v0, v[0:1] glc
	s_waitcnt vmcnt(0) lgkmcnt(0)
	buffer_wbinvl1_vol
	v_cmp_eq_u32_e32 vcc, 0, v0
	s_and_b64 s[94:95], vcc, exec
	s_or_b64 s[92:93], s[92:93], s[94:95]
	s_mov_b64 vcc, -1
	s_or_b64 s[90:91], s[90:91], exec
	s_and_saveexec_b64 s[94:95], s[92:93]
	s_cbranch_execz .LBB6_426
.LBB6_430:                              ;   in Loop: Header=BB6_427 Depth=5
	s_sleep 1
	s_trap 2
	ds_read_b64 v[0:1], v0
	s_waitcnt lgkmcnt(0)
	s_andn2_b64 s[90:91], s[90:91], exec
	v_cmp_ge_u64_e32 vcc, v[0:1], v[20:21]
	s_orn2_b64 vcc, vcc, exec
	s_branch .LBB6_426
.LBB6_431:                              ;   in Loop: Header=BB6_393 Depth=4
	s_or_b64 exec, exec, s[78:79]
	s_and_saveexec_b64 s[78:79], s[88:89]
	s_xor_b64 s[78:79], exec, s[78:79]
	s_cbranch_execz .LBB6_433
; %bb.432:                              ;   in Loop: Header=BB6_393 Depth=4
	ds_write_b32 v0, v29
	s_trap 2
.LBB6_433:                              ;   in Loop: Header=BB6_393 Depth=4
	s_or_b64 exec, exec, s[76:77]
	;;#ASMSTART
	s_wakeup
	;;#ASMEND
.LBB6_434:                              ;   in Loop: Header=BB6_393 Depth=4
	s_or_b64 exec, exec, s[74:75]
.LBB6_435:                              ;   in Loop: Header=BB6_393 Depth=4
	s_andn2_saveexec_b64 s[72:73], s[72:73]
	s_cbranch_execz .LBB6_437
; %bb.436:                              ;   in Loop: Header=BB6_393 Depth=4
	s_waitcnt vmcnt(0) lgkmcnt(0)
	buffer_wbinvl1_vol
	s_barrier
.LBB6_437:                              ;   in Loop: Header=BB6_393 Depth=4
	s_or_b64 exec, exec, s[72:73]
.LBB6_438:                              ;   in Loop: Header=BB6_393 Depth=4
	s_or_b64 exec, exec, s[22:23]
	s_trap 2
	ds_read_b32 v0, v0
	v_cmp_lt_i32_e32 vcc, 0, v8
	v_and_b32_e32 v9, 16, v39
	s_waitcnt lgkmcnt(0)
	v_readfirstlane_b32 s22, v0
	s_cmp_eq_u32 s22, 0
	s_cselect_b64 s[22:23], -1, 0
	s_and_b64 s[22:23], vcc, s[22:23]
	v_cmp_ne_u32_e32 vcc, 0, v9
	s_and_b64 s[72:73], vcc, s[22:23]
	s_and_saveexec_b64 s[22:23], s[72:73]
	s_cbranch_execz .LBB6_440
; %bb.439:                              ;   in Loop: Header=BB6_393 Depth=4
	s_waitcnt vmcnt(0)
	buffer_wbinvl1_vol
.LBB6_440:                              ;   in Loop: Header=BB6_393 Depth=4
	s_or_b64 exec, exec, s[22:23]
	v_cmp_ne_u32_e32 vcc, 0, v9
	s_xor_b64 s[22:23], s[18:19], -1
	s_and_b64 s[72:73], vcc, s[22:23]
	s_and_saveexec_b64 s[22:23], s[72:73]
	s_cbranch_execz .LBB6_442
; %bb.441:                              ;   in Loop: Header=BB6_393 Depth=4
	flat_store_dword v[10:11], v29
.LBB6_442:                              ;   in Loop: Header=BB6_393 Depth=4
	s_or_b64 exec, exec, s[22:23]
	v_and_b32_e32 v0, 48, v39
	v_cmp_ne_u32_e32 vcc, 0, v0
	s_and_saveexec_b64 s[22:23], vcc
	s_cbranch_execz .LBB6_392
; %bb.443:                              ;   in Loop: Header=BB6_393 Depth=4
	v_add_co_u32_e32 v31, vcc, 2, v31
	v_addc_co_u32_e32 v32, vcc, 0, v32, vcc
	flat_store_dwordx2 v[16:17], v[31:32]
	s_branch .LBB6_392
.LBB6_444:                              ;   in Loop: Header=BB6_89 Depth=2
	buffer_load_dword v18, off, s[0:3], s33 offset:168 ; 4-byte Folded Reload
	buffer_load_dword v19, off, s[0:3], s33 offset:172 ; 4-byte Folded Reload
.LBB6_445:                              ;   in Loop: Header=BB6_89 Depth=2
	buffer_load_dword v1, off, s[0:3], s33 offset:176 ; 4-byte Folded Reload
	buffer_load_dword v2, off, s[0:3], s33 offset:180 ; 4-byte Folded Reload
	s_waitcnt vmcnt(0)
	buffer_store_dword v12, off, s[0:3], s33 offset:80 ; 4-byte Folded Spill
	s_nop 0
	buffer_store_dword v13, off, s[0:3], s33 offset:84 ; 4-byte Folded Spill
	buffer_load_dword v0, off, s[0:3], s33 offset:208 ; 4-byte Folded Reload
	v_mov_b32_e32 v8, 0
	v_mov_b32_e32 v11, 0
	s_waitcnt vmcnt(0)
	v_add_co_u32_e32 v13, vcc, v1, v0
	buffer_load_dword v0, off, s[0:3], s33 offset:212 ; 4-byte Folded Reload
	v_max_i32_e32 v25, 0, v13
	s_waitcnt vmcnt(0)
	v_addc_co_u32_e32 v37, vcc, v2, v0, vcc
	v_add_u32_e32 v0, 31, v25
	v_lshrrev_b32_e32 v0, 1, v0
	v_and_b32_e32 v0, 0x3ffffff0, v0
	v_cmp_lt_i32_e32 vcc, 0, v13
	v_max_i32_e32 v33, s51, v0
	s_and_b64 s[22:23], s[40:41], vcc
	s_and_saveexec_b64 s[58:59], s[22:23]
	s_cbranch_execz .LBB6_564
; %bb.446:                              ;   in Loop: Header=BB6_89 Depth=2
	s_mov_b32 s38, 1
	s_mov_b64 s[62:63], -1
	v_mov_b32_e32 v11, 0
	s_mov_b64 s[60:61], 0
	buffer_store_dword v13, off, s[0:3], s33 offset:148 ; 4-byte Folded Spill
	buffer_store_dword v37, off, s[0:3], s33 offset:200 ; 4-byte Folded Spill
	s_branch .LBB6_448
.LBB6_447:                              ;   in Loop: Header=BB6_448 Depth=3
	s_or_b64 exec, exec, s[22:23]
	v_add_u32_e32 v11, v33, v11
	v_cmp_ge_i32_e32 vcc, v11, v25
	s_xor_b64 s[22:23], s[62:63], -1
	s_or_b64 s[22:23], s[22:23], vcc
	s_and_b64 s[22:23], exec, s[22:23]
	s_or_b64 s[60:61], s[22:23], s[60:61]
	s_mov_b64 s[62:63], 0
	v_mov_b32_e32 v8, s38
	s_mov_b32 s38, 2
	s_andn2_b64 exec, exec, s[60:61]
	s_cbranch_execz .LBB6_563
.LBB6_448:                              ;   Parent Loop BB6_53 Depth=1
                                        ;     Parent Loop BB6_89 Depth=2
                                        ; =>    This Loop Header: Depth=3
                                        ;         Child Loop BB6_456 Depth 4
                                        ;         Child Loop BB6_480 Depth 4
	;; [unrolled: 1-line block ×8, first 2 shown]
	s_and_saveexec_b64 s[22:23], s[4:5]
	s_cbranch_execz .LBB6_450
; %bb.449:                              ;   in Loop: Header=BB6_448 Depth=3
	s_trap 2
	ds_read_b128 v[0:3], v0
	s_waitcnt vmcnt(0)
	v_ashrrev_i32_e32 v4, 31, v11
	s_waitcnt lgkmcnt(0)
	v_add_co_u32_e32 v0, vcc, v0, v13
	v_addc_co_u32_e32 v1, vcc, v1, v37, vcc
	v_add_co_u32_e32 v0, vcc, v0, v11
	v_addc_co_u32_e32 v1, vcc, v1, v4, vcc
	ds_write_b64 v0, v[0:1]
	v_add_co_u32_e32 v0, vcc, v2, v13
	v_addc_co_u32_e32 v1, vcc, v3, v37, vcc
	v_add_co_u32_e32 v0, vcc, v0, v11
	v_addc_co_u32_e32 v1, vcc, v1, v4, vcc
	buffer_load_dword v4, off, s[0:3], s33 offset:64 ; 4-byte Folded Reload
	buffer_load_dword v5, off, s[0:3], s33 offset:68 ; 4-byte Folded Reload
	buffer_load_dword v6, off, s[0:3], s33 offset:72 ; 4-byte Folded Reload
	buffer_load_dword v7, off, s[0:3], s33 offset:76 ; 4-byte Folded Reload
	v_cmp_ne_u64_e32 vcc, 0, v[2:3]
	v_cndmask_b32_e32 v1, 0, v1, vcc
	v_cndmask_b32_e32 v0, 0, v0, vcc
	ds_write_b64 v0, v[0:1]
.LBB6_450:                              ;   in Loop: Header=BB6_448 Depth=3
	s_or_b64 exec, exec, s[22:23]
	v_and_b32_e32 v0, 4, v39
	v_cmp_ne_u32_e32 vcc, 0, v0
	s_and_saveexec_b64 s[72:73], vcc
	s_cbranch_execz .LBB6_472
; %bb.451:                              ;   in Loop: Header=BB6_448 Depth=3
	v_add_co_u32_e32 v8, vcc, 2, v31
	v_addc_co_u32_e32 v9, vcc, 0, v32, vcc
	s_waitcnt vmcnt(0)
	v_cmp_lt_u64_e32 vcc, v[22:23], v[8:9]
	s_and_saveexec_b64 s[74:75], vcc
	s_cbranch_execz .LBB6_463
; %bb.452:                              ;   in Loop: Header=BB6_448 Depth=3
	v_and_b32_e32 v0, 64, v39
	s_mov_b32 s39, 0
	v_cmp_eq_u32_e32 vcc, 0, v0
	s_mov_b64 s[76:77], 0
                                        ; implicit-def: $sgpr78_sgpr79
                                        ; implicit-def: $sgpr88_sgpr89
                                        ; implicit-def: $sgpr90_sgpr91
	s_branch .LBB6_456
.LBB6_453:                              ;   in Loop: Header=BB6_456 Depth=4
	s_waitcnt vmcnt(0) lgkmcnt(0)
	v_cmp_ge_u64_e64 s[22:23], v[22:23], v[8:9]
	s_or_b64 s[30:31], s[30:31], exec
	s_orn2_b64 s[94:95], s[22:23], exec
.LBB6_454:                              ;   in Loop: Header=BB6_456 Depth=4
	s_or_b64 exec, exec, s[36:37]
	s_andn2_b64 s[22:23], s[90:91], exec
	s_and_b64 s[90:91], s[30:31], exec
	s_or_b64 s[90:91], s[22:23], s[90:91]
	s_andn2_b64 s[22:23], s[88:89], exec
	s_and_b64 s[88:89], s[94:95], exec
	s_or_b64 s[88:89], s[22:23], s[88:89]
.LBB6_455:                              ;   in Loop: Header=BB6_456 Depth=4
	s_or_b64 exec, exec, s[92:93]
	s_and_b64 s[22:23], exec, s[88:89]
	s_or_b64 s[76:77], s[22:23], s[76:77]
	s_andn2_b64 s[22:23], s[78:79], exec
	s_and_b64 s[78:79], s[90:91], exec
	s_or_b64 s[78:79], s[22:23], s[78:79]
	s_andn2_b64 exec, exec, s[76:77]
	s_cbranch_execz .LBB6_460
.LBB6_456:                              ;   Parent Loop BB6_53 Depth=1
                                        ;     Parent Loop BB6_89 Depth=2
                                        ;       Parent Loop BB6_448 Depth=3
                                        ; =>      This Inner Loop Header: Depth=4
	s_sleep 1
	s_waitcnt vmcnt(0) lgkmcnt(0)
	flat_load_dwordx2 v[22:23], v[16:17] glc
	s_or_b64 s[90:91], s[90:91], exec
	s_or_b64 s[88:89], s[88:89], exec
                                        ; implicit-def: $vgpr49
	s_and_saveexec_b64 s[92:93], vcc
	s_cbranch_execz .LBB6_455
; %bb.457:                              ;   in Loop: Header=BB6_456 Depth=4
	s_cmpk_lt_i32 s39, 0x270f
	s_cselect_b64 s[34:35], -1, 0
	s_cmpk_gt_i32 s39, 0x270e
	s_mov_b64 s[94:95], -1
	s_cbranch_scc0 .LBB6_459
; %bb.458:                              ;   in Loop: Header=BB6_456 Depth=4
	s_trap 2
	ds_read_b64 v[0:1], v0
	s_andn2_b64 s[34:35], s[34:35], exec
	s_mov_b32 s39, 0
	s_mov_b64 s[30:31], 0
	s_waitcnt vmcnt(0) lgkmcnt(0)
	flat_load_dword v49, v[0:1] glc
	s_waitcnt vmcnt(0) lgkmcnt(0)
	buffer_wbinvl1_vol
	v_cmp_eq_u32_e64 s[22:23], 0, v49
	s_and_b64 s[22:23], s[22:23], exec
	s_or_b64 s[34:35], s[34:35], s[22:23]
	s_and_saveexec_b64 s[36:37], s[34:35]
	s_cbranch_execz .LBB6_454
	s_branch .LBB6_453
.LBB6_459:                              ;   in Loop: Header=BB6_456 Depth=4
	s_add_i32 s39, s39, 1
	s_mov_b64 s[30:31], -1
                                        ; implicit-def: $vgpr49
	s_and_saveexec_b64 s[36:37], s[34:35]
	s_cbranch_execz .LBB6_454
	s_branch .LBB6_453
.LBB6_460:                              ;   in Loop: Header=BB6_448 Depth=3
	s_or_b64 exec, exec, s[76:77]
	s_xor_b64 s[22:23], s[78:79], -1
	s_and_saveexec_b64 s[76:77], s[22:23]
	s_xor_b64 s[22:23], exec, s[76:77]
	s_cbranch_execz .LBB6_462
; %bb.461:                              ;   in Loop: Header=BB6_448 Depth=3
	v_or_b32_e32 v39, 64, v39
	s_waitcnt lgkmcnt(0)
	ds_write_b32 v0, v49
	s_trap 2
.LBB6_462:                              ;   in Loop: Header=BB6_448 Depth=3
	s_or_b64 exec, exec, s[22:23]
.LBB6_463:                              ;   in Loop: Header=BB6_448 Depth=3
	s_or_b64 exec, exec, s[74:75]
	v_and_b32_e32 v0, 0x100, v39
	v_cmp_ne_u32_e32 vcc, 0, v0
	v_and_b32_e32 v54, 7, v31
	s_mov_b64 s[22:23], -1
	;;#ASMSTART
	s_wakeup
	;;#ASMEND
                                        ; implicit-def: $vgpr48_vgpr49
	s_and_saveexec_b64 s[74:75], vcc
	s_cbranch_execz .LBB6_467
; %bb.464:                              ;   in Loop: Header=BB6_448 Depth=3
	s_waitcnt vmcnt(0)
	v_mad_u64_u32 v[52:53], s[22:23], v54, 24, v[4:5]
                                        ; implicit-def: $vgpr48_vgpr49
	flat_load_dword v0, v[52:53]
	s_waitcnt vmcnt(0) lgkmcnt(0)
	v_cmp_ne_u32_e32 vcc, 1, v0
	v_cmp_eq_u32_e64 s[22:23], 1, v0
	s_and_saveexec_b64 s[76:77], s[22:23]
	s_cbranch_execz .LBB6_466
; %bb.465:                              ;   in Loop: Header=BB6_448 Depth=3
	flat_load_dword v48, v[52:53] offset:4 glc
	s_waitcnt vmcnt(0) lgkmcnt(0)
	v_ashrrev_i32_e32 v49, 31, v48
.LBB6_466:                              ;   in Loop: Header=BB6_448 Depth=3
	s_or_b64 exec, exec, s[76:77]
	s_orn2_b64 s[22:23], vcc, exec
.LBB6_467:                              ;   in Loop: Header=BB6_448 Depth=3
	s_or_b64 exec, exec, s[74:75]
	s_and_saveexec_b64 s[74:75], s[22:23]
; %bb.468:                              ;   in Loop: Header=BB6_448 Depth=3
	v_mad_i64_i32 v[48:49], s[22:23], v54, v60, 0
; %bb.469:                              ;   in Loop: Header=BB6_448 Depth=3
	s_or_b64 exec, exec, s[74:75]
	v_add_co_u32_e32 v0, vcc, v14, v48
	v_addc_co_u32_e32 v1, vcc, v15, v49, vcc
	ds_write_b64 v0, v[0:1] offset:720
	v_and_b32_e32 v0, 0x2000, v39
	v_cmp_ne_u32_e32 vcc, 0, v0
	s_and_saveexec_b64 s[22:23], vcc
	s_cbranch_execz .LBB6_471
; %bb.470:                              ;   in Loop: Header=BB6_448 Depth=3
	ds_read_b64 v[0:1], v0 offset:872
	s_waitcnt lgkmcnt(0)
	v_add_co_u32_e32 v0, vcc, 1, v0
	v_addc_co_u32_e32 v1, vcc, 0, v1, vcc
	ds_write_b64 v0, v[0:1] offset:872
.LBB6_471:                              ;   in Loop: Header=BB6_448 Depth=3
	s_or_b64 exec, exec, s[22:23]
	v_mov_b32_e32 v32, v9
	v_mov_b32_e32 v31, v8
.LBB6_472:                              ;   in Loop: Header=BB6_448 Depth=3
	s_or_b64 exec, exec, s[72:73]
	s_and_saveexec_b64 s[22:23], s[6:7]
	s_cbranch_execz .LBB6_491
; %bb.473:                              ;   in Loop: Header=BB6_448 Depth=3
	s_and_saveexec_b64 s[72:73], s[28:29]
	s_xor_b64 s[72:73], exec, s[72:73]
	s_cbranch_execz .LBB6_488
; %bb.474:                              ;   in Loop: Header=BB6_448 Depth=3
	s_and_saveexec_b64 s[74:75], s[12:13]
	s_cbranch_execz .LBB6_487
; %bb.475:                              ;   in Loop: Header=BB6_448 Depth=3
	s_mov_b64 s[78:79], exec
	v_mbcnt_lo_u32_b32 v0, s78, 0
	v_mbcnt_hi_u32_b32 v0, s79, v0
	v_cmp_eq_u32_e32 vcc, 0, v0
	s_waitcnt vmcnt(0) lgkmcnt(0)
	buffer_wbinvl1_vol
	s_and_saveexec_b64 s[76:77], vcc
	s_cbranch_execz .LBB6_477
; %bb.476:                              ;   in Loop: Header=BB6_448 Depth=3
	s_bcnt1_i32_b64 s78, s[78:79]
	v_mov_b32_e32 v0, s78
	v_mov_b32_e32 v1, v12
	ds_add_u64 v0, v[0:1]
	s_trap 2
.LBB6_477:                              ;   in Loop: Header=BB6_448 Depth=3
	s_or_b64 exec, exec, s[76:77]
	s_trap 2
	ds_read_b64 v[0:1], v0
	s_waitcnt lgkmcnt(0)
	v_add_co_u32_e32 v20, vcc, v20, v24
	v_addc_co_u32_e32 v21, vcc, 0, v21, vcc
	v_cmp_lt_u64_e32 vcc, v[0:1], v[20:21]
	s_and_saveexec_b64 s[76:77], vcc
	s_cbranch_execz .LBB6_486
; %bb.478:                              ;   in Loop: Header=BB6_448 Depth=3
	s_mov_b32 s30, 0
	s_mov_b64 s[78:79], 0
                                        ; implicit-def: $sgpr88_sgpr89
                                        ; implicit-def: $sgpr90_sgpr91
	s_branch .LBB6_480
.LBB6_479:                              ;   in Loop: Header=BB6_480 Depth=4
	s_or_b64 exec, exec, s[94:95]
	s_and_b64 s[92:93], exec, vcc
	s_or_b64 s[78:79], s[92:93], s[78:79]
	s_andn2_b64 s[88:89], s[88:89], exec
	s_and_b64 s[92:93], s[90:91], exec
	s_or_b64 s[88:89], s[88:89], s[92:93]
	s_andn2_b64 exec, exec, s[78:79]
	s_cbranch_execz .LBB6_484
.LBB6_480:                              ;   Parent Loop BB6_53 Depth=1
                                        ;     Parent Loop BB6_89 Depth=2
                                        ;       Parent Loop BB6_448 Depth=3
                                        ; =>      This Inner Loop Header: Depth=4
	s_add_i32 s30, s30, 1
	s_cmpk_lg_i32 s30, 0x2710
	s_cselect_b64 s[92:93], -1, 0
	s_and_b64 vcc, exec, s[92:93]
	s_cbranch_vccz .LBB6_482
; %bb.481:                              ;   in Loop: Header=BB6_480 Depth=4
	s_mov_b64 vcc, -1
	s_or_b64 s[90:91], s[90:91], exec
	s_and_saveexec_b64 s[94:95], s[92:93]
	s_cbranch_execz .LBB6_479
	s_branch .LBB6_483
.LBB6_482:                              ;   in Loop: Header=BB6_480 Depth=4
	s_trap 2
	ds_read_b64 v[0:1], v0
	s_andn2_b64 s[92:93], s[92:93], exec
	s_mov_b32 s30, 0
	s_waitcnt lgkmcnt(0)
	flat_load_dword v0, v[0:1] glc
	s_waitcnt vmcnt(0) lgkmcnt(0)
	buffer_wbinvl1_vol
	v_cmp_eq_u32_e32 vcc, 0, v0
	s_and_b64 s[94:95], vcc, exec
	s_or_b64 s[92:93], s[92:93], s[94:95]
	s_mov_b64 vcc, -1
	s_or_b64 s[90:91], s[90:91], exec
	s_and_saveexec_b64 s[94:95], s[92:93]
	s_cbranch_execz .LBB6_479
.LBB6_483:                              ;   in Loop: Header=BB6_480 Depth=4
	s_sleep 1
	s_trap 2
	ds_read_b64 v[0:1], v0
	s_waitcnt lgkmcnt(0)
	s_andn2_b64 s[90:91], s[90:91], exec
	v_cmp_ge_u64_e32 vcc, v[0:1], v[20:21]
	s_orn2_b64 vcc, vcc, exec
	s_branch .LBB6_479
.LBB6_484:                              ;   in Loop: Header=BB6_448 Depth=3
	s_or_b64 exec, exec, s[78:79]
	s_and_saveexec_b64 s[78:79], s[88:89]
	s_xor_b64 s[78:79], exec, s[78:79]
	s_cbranch_execz .LBB6_486
; %bb.485:                              ;   in Loop: Header=BB6_448 Depth=3
	ds_write_b32 v0, v29
	s_trap 2
.LBB6_486:                              ;   in Loop: Header=BB6_448 Depth=3
	s_or_b64 exec, exec, s[76:77]
	;;#ASMSTART
	s_wakeup
	;;#ASMEND
.LBB6_487:                              ;   in Loop: Header=BB6_448 Depth=3
	s_or_b64 exec, exec, s[74:75]
.LBB6_488:                              ;   in Loop: Header=BB6_448 Depth=3
	s_andn2_saveexec_b64 s[72:73], s[72:73]
	s_cbranch_execz .LBB6_490
; %bb.489:                              ;   in Loop: Header=BB6_448 Depth=3
	s_waitcnt vmcnt(0) lgkmcnt(0)
	buffer_wbinvl1_vol
	s_barrier
.LBB6_490:                              ;   in Loop: Header=BB6_448 Depth=3
	s_or_b64 exec, exec, s[72:73]
.LBB6_491:                              ;   in Loop: Header=BB6_448 Depth=3
	s_or_b64 exec, exec, s[22:23]
	s_trap 2
	ds_read_b32 v54, v0
	v_and_b32_e32 v0, 0x4000, v39
	v_cmp_ne_u32_e32 vcc, 0, v0
	s_xor_b64 s[22:23], s[16:17], -1
	s_and_b64 s[72:73], s[22:23], vcc
	s_and_saveexec_b64 s[22:23], s[72:73]
	s_cbranch_execz .LBB6_510
; %bb.492:                              ;   in Loop: Header=BB6_448 Depth=3
	s_and_saveexec_b64 s[72:73], s[28:29]
	s_xor_b64 s[72:73], exec, s[72:73]
	s_cbranch_execz .LBB6_507
; %bb.493:                              ;   in Loop: Header=BB6_448 Depth=3
	s_and_saveexec_b64 s[74:75], s[12:13]
	s_cbranch_execz .LBB6_506
; %bb.494:                              ;   in Loop: Header=BB6_448 Depth=3
	s_mov_b64 s[78:79], exec
	v_mbcnt_lo_u32_b32 v0, s78, 0
	v_mbcnt_hi_u32_b32 v0, s79, v0
	v_cmp_eq_u32_e32 vcc, 0, v0
	s_waitcnt vmcnt(0) lgkmcnt(0)
	buffer_wbinvl1_vol
	s_and_saveexec_b64 s[76:77], vcc
	s_cbranch_execz .LBB6_496
; %bb.495:                              ;   in Loop: Header=BB6_448 Depth=3
	s_bcnt1_i32_b64 s78, s[78:79]
	v_mov_b32_e32 v0, s78
	v_mov_b32_e32 v1, v12
	ds_add_u64 v0, v[0:1]
	s_trap 2
.LBB6_496:                              ;   in Loop: Header=BB6_448 Depth=3
	s_or_b64 exec, exec, s[76:77]
	s_trap 2
	ds_read_b64 v[0:1], v0
	s_waitcnt lgkmcnt(0)
	v_add_co_u32_e32 v20, vcc, v20, v24
	v_addc_co_u32_e32 v21, vcc, 0, v21, vcc
	v_cmp_lt_u64_e32 vcc, v[0:1], v[20:21]
	s_and_saveexec_b64 s[76:77], vcc
	s_cbranch_execz .LBB6_505
; %bb.497:                              ;   in Loop: Header=BB6_448 Depth=3
	s_mov_b32 s30, 0
	s_mov_b64 s[78:79], 0
                                        ; implicit-def: $sgpr88_sgpr89
                                        ; implicit-def: $sgpr90_sgpr91
	s_branch .LBB6_499
.LBB6_498:                              ;   in Loop: Header=BB6_499 Depth=4
	s_or_b64 exec, exec, s[94:95]
	s_and_b64 s[92:93], exec, vcc
	s_or_b64 s[78:79], s[92:93], s[78:79]
	s_andn2_b64 s[88:89], s[88:89], exec
	s_and_b64 s[92:93], s[90:91], exec
	s_or_b64 s[88:89], s[88:89], s[92:93]
	s_andn2_b64 exec, exec, s[78:79]
	s_cbranch_execz .LBB6_503
.LBB6_499:                              ;   Parent Loop BB6_53 Depth=1
                                        ;     Parent Loop BB6_89 Depth=2
                                        ;       Parent Loop BB6_448 Depth=3
                                        ; =>      This Inner Loop Header: Depth=4
	s_add_i32 s30, s30, 1
	s_cmpk_lg_i32 s30, 0x2710
	s_cselect_b64 s[92:93], -1, 0
	s_and_b64 vcc, exec, s[92:93]
	s_cbranch_vccz .LBB6_501
; %bb.500:                              ;   in Loop: Header=BB6_499 Depth=4
	s_mov_b64 vcc, -1
	s_or_b64 s[90:91], s[90:91], exec
	s_and_saveexec_b64 s[94:95], s[92:93]
	s_cbranch_execz .LBB6_498
	s_branch .LBB6_502
.LBB6_501:                              ;   in Loop: Header=BB6_499 Depth=4
	s_trap 2
	ds_read_b64 v[0:1], v0
	s_andn2_b64 s[92:93], s[92:93], exec
	s_mov_b32 s30, 0
	s_waitcnt lgkmcnt(0)
	flat_load_dword v0, v[0:1] glc
	s_waitcnt vmcnt(0) lgkmcnt(0)
	buffer_wbinvl1_vol
	v_cmp_eq_u32_e32 vcc, 0, v0
	s_and_b64 s[94:95], vcc, exec
	s_or_b64 s[92:93], s[92:93], s[94:95]
	s_mov_b64 vcc, -1
	s_or_b64 s[90:91], s[90:91], exec
	s_and_saveexec_b64 s[94:95], s[92:93]
	s_cbranch_execz .LBB6_498
.LBB6_502:                              ;   in Loop: Header=BB6_499 Depth=4
	s_sleep 1
	s_trap 2
	ds_read_b64 v[0:1], v0
	s_waitcnt lgkmcnt(0)
	s_andn2_b64 s[90:91], s[90:91], exec
	v_cmp_ge_u64_e32 vcc, v[0:1], v[20:21]
	s_orn2_b64 vcc, vcc, exec
	s_branch .LBB6_498
.LBB6_503:                              ;   in Loop: Header=BB6_448 Depth=3
	s_or_b64 exec, exec, s[78:79]
	s_and_saveexec_b64 s[78:79], s[88:89]
	s_xor_b64 s[78:79], exec, s[78:79]
	s_cbranch_execz .LBB6_505
; %bb.504:                              ;   in Loop: Header=BB6_448 Depth=3
	ds_write_b32 v0, v29
	s_trap 2
.LBB6_505:                              ;   in Loop: Header=BB6_448 Depth=3
	s_or_b64 exec, exec, s[76:77]
	;;#ASMSTART
	s_wakeup
	;;#ASMEND
.LBB6_506:                              ;   in Loop: Header=BB6_448 Depth=3
	s_or_b64 exec, exec, s[74:75]
.LBB6_507:                              ;   in Loop: Header=BB6_448 Depth=3
	s_andn2_saveexec_b64 s[72:73], s[72:73]
	s_cbranch_execz .LBB6_509
; %bb.508:                              ;   in Loop: Header=BB6_448 Depth=3
	s_waitcnt vmcnt(0) lgkmcnt(0)
	buffer_wbinvl1_vol
	s_barrier
.LBB6_509:                              ;   in Loop: Header=BB6_448 Depth=3
	s_or_b64 exec, exec, s[72:73]
.LBB6_510:                              ;   in Loop: Header=BB6_448 Depth=3
	s_or_b64 exec, exec, s[22:23]
	v_sub_u32_e32 v0, v25, v11
	s_trap 2
	ds_read_b64 v[8:9], v0
	v_min_i32_e32 v33, v33, v0
	s_waitcnt lgkmcnt(0)
	v_cmp_eq_u64_e32 vcc, 0, v[8:9]
	s_cbranch_vccnz .LBB6_518
; %bb.511:                              ;   in Loop: Header=BB6_448 Depth=3
	s_trap 2
	ds_read_b64 v[52:53], v0
	s_waitcnt lgkmcnt(0)
	v_cmp_eq_u64_e32 vcc, 0, v[52:53]
	s_cbranch_vccnz .LBB6_518
; %bb.512:                              ;   in Loop: Header=BB6_448 Depth=3
	s_mov_b64 s[22:23], -1
	s_and_saveexec_b64 s[72:73], s[14:15]
	s_cbranch_execz .LBB6_514
; %bb.513:                              ;   in Loop: Header=BB6_448 Depth=3
	ds_read_b32 v0, v0 offset:720
	s_waitcnt lgkmcnt(0)
	v_and_b32_e32 v0, 15, v0
	v_cmp_eq_u32_e32 vcc, 0, v0
	s_orn2_b64 s[22:23], vcc, exec
.LBB6_514:                              ;   in Loop: Header=BB6_448 Depth=3
	s_or_b64 exec, exec, s[72:73]
	s_and_saveexec_b64 s[72:73], s[10:11]
	s_cbranch_execz .LBB6_516
; %bb.515:                              ;   in Loop: Header=BB6_448 Depth=3
	ds_read_b32 v0, v0 offset:784
	s_waitcnt lgkmcnt(0)
	v_and_b32_e32 v0, 15, v0
	v_cmp_eq_u32_e32 vcc, 0, v0
	s_and_b64 s[74:75], s[22:23], vcc
	s_andn2_b64 s[22:23], s[22:23], exec
	s_and_b64 s[74:75], s[74:75], exec
	s_or_b64 s[22:23], s[22:23], s[74:75]
.LBB6_516:                              ;   in Loop: Header=BB6_448 Depth=3
	s_or_b64 exec, exec, s[72:73]
	buffer_load_dword v40, off, s[0:3], s33 offset:60 ; 4-byte Folded Reload
	v_cmp_eq_u32_e32 vcc, 0, v54
	s_xor_b64 s[22:23], s[22:23], -1
	v_cndmask_b32_e32 v10, 0, v33, vcc
	v_cndmask_b32_e64 v0, 0, 1, s[22:23]
	s_mov_b64 s[74:75], -1
	v_cmp_ne_u32_e32 vcc, 0, v0
	v_mov_b32_e32 v54, 0
	v_mov_b32_e32 v55, v10
	s_waitcnt vmcnt(0)
	v_mov_b32_e32 v56, v27
	s_cbranch_vccz .LBB6_519
; %bb.517:                              ;   in Loop: Header=BB6_448 Depth=3
	s_and_saveexec_b64 s[22:23], s[74:75]
	s_cbranch_execnz .LBB6_532
	s_branch .LBB6_540
.LBB6_518:                              ;   in Loop: Header=BB6_448 Depth=3
	s_mov_b64 s[22:23], 0
	s_and_saveexec_b64 s[72:73], s[6:7]
	s_cbranch_execnz .LBB6_541
	s_branch .LBB6_559
.LBB6_519:                              ;   in Loop: Header=BB6_448 Depth=3
	v_ashrrev_i32_e32 v0, 31, v10
	v_lshrrev_b32_e32 v0, 19, v0
	v_add_u32_e32 v0, v10, v0
	v_ashrrev_i32_e32 v47, 13, v0
	v_sub_u32_e32 v46, v47, v27
	v_cmp_lt_i32_e32 vcc, 0, v46
	s_and_saveexec_b64 s[72:73], vcc
	s_cbranch_execz .LBB6_523
; %bb.520:                              ;   in Loop: Header=BB6_448 Depth=3
	v_mov_b32_e32 v55, v53
	s_waitcnt vmcnt(0)
	v_mov_b32_e32 v41, v9
	s_mov_b64 s[74:75], 0
	v_mov_b32_e32 v54, v52
	v_mov_b32_e32 v40, v8
	v_ashrrev_i32_e32 v62, 31, v38
	v_lshlrev_b32_e32 v25, 13, v24
	buffer_store_dword v20, off, s[0:3], s33 offset:132 ; 4-byte Folded Spill
	s_nop 0
	buffer_store_dword v21, off, s[0:3], s33 offset:136 ; 4-byte Folded Spill
.LBB6_521:                              ;   Parent Loop BB6_53 Depth=1
                                        ;     Parent Loop BB6_89 Depth=2
                                        ;       Parent Loop BB6_448 Depth=3
                                        ; =>      This Inner Loop Header: Depth=4
	v_add_co_u32_e32 v12, vcc, v38, v40
	v_addc_co_u32_e32 v13, vcc, v62, v41, vcc
	global_load_dwordx4 v[0:3], v[12:13], off glc slc
	global_load_dwordx4 v[4:7], v[12:13], off offset:1024 glc slc
	global_load_dwordx4 v[18:21], v[12:13], off offset:2048 glc slc
	;; [unrolled: 1-line block ×3, first 2 shown]
	v_add_co_u32_e32 v12, vcc, s54, v12
	v_addc_co_u32_e32 v13, vcc, 0, v13, vcc
	global_load_dwordx4 v[56:59], v[12:13], off glc slc
	global_load_dwordx4 v[34:37], v[12:13], off offset:1024 glc slc
	global_load_dwordx4 v[42:45], v[12:13], off offset:2048 glc slc
	;; [unrolled: 1-line block ×3, first 2 shown]
	v_add_co_u32_e32 v12, vcc, v38, v54
	v_addc_co_u32_e32 v13, vcc, v62, v55, vcc
	v_add_co_u32_e32 v40, vcc, v40, v25
	v_addc_co_u32_e32 v41, vcc, 0, v41, vcc
	v_sub_u32_e32 v46, v46, v24
	v_add_co_u32_e32 v54, vcc, v54, v25
	v_addc_co_u32_e32 v55, vcc, 0, v55, vcc
	v_cmp_gt_i32_e64 s[22:23], 1, v46
	v_add_co_u32_e32 v60, vcc, s54, v12
	s_or_b64 s[74:75], s[22:23], s[74:75]
	v_addc_co_u32_e32 v61, vcc, 0, v13, vcc
	s_waitcnt vmcnt(7)
	global_store_dwordx4 v[12:13], v[0:3], off glc slc
	s_waitcnt vmcnt(7)
	global_store_dwordx4 v[12:13], v[4:7], off offset:1024 glc slc
	s_waitcnt vmcnt(7)
	global_store_dwordx4 v[12:13], v[18:21], off offset:2048 glc slc
	;; [unrolled: 2-line block ×3, first 2 shown]
	s_waitcnt vmcnt(7)
	global_store_dwordx4 v[60:61], v[56:59], off glc slc
	s_waitcnt vmcnt(7)
	global_store_dwordx4 v[60:61], v[34:37], off offset:1024 glc slc
	s_waitcnt vmcnt(7)
	global_store_dwordx4 v[60:61], v[42:45], off offset:2048 glc slc
	;; [unrolled: 2-line block ×3, first 2 shown]
	s_andn2_b64 exec, exec, s[74:75]
	s_cbranch_execnz .LBB6_521
; %bb.522:                              ;   in Loop: Header=BB6_448 Depth=3
	s_or_b64 exec, exec, s[74:75]
	buffer_load_dword v4, off, s[0:3], s33 offset:64 ; 4-byte Folded Reload
	buffer_load_dword v5, off, s[0:3], s33 offset:68 ; 4-byte Folded Reload
	;; [unrolled: 1-line block ×15, first 2 shown]
	v_lshlrev_b32_e32 v44, 10, v24
	v_mov_b32_e32 v29, 1
	v_mov_b32_e32 v34, 0xc8
	;; [unrolled: 1-line block ×3, first 2 shown]
	s_waitcnt vmcnt(1)
	v_max_i32_e32 v25, 0, v13
.LBB6_523:                              ;   in Loop: Header=BB6_448 Depth=3
	s_or_b64 exec, exec, s[72:73]
	v_lshlrev_b32_e32 v41, 13, v47
	v_cmp_ne_u32_e32 vcc, v10, v41
	s_mov_b64 s[74:75], 0
	v_mov_b32_e32 v54, 0
                                        ; implicit-def: $vgpr55
                                        ; implicit-def: $vgpr40
                                        ; implicit-def: $vgpr56
	s_and_saveexec_b64 s[72:73], vcc
	s_cbranch_execz .LBB6_531
; %bb.524:                              ;   in Loop: Header=BB6_448 Depth=3
	buffer_load_dword v2, off, s[0:3], s33 offset:164 ; 4-byte Folded Reload
	v_lshlrev_b32_e32 v1, 6, v46
	v_sub_u32_e32 v0, v10, v41
	s_waitcnt vmcnt(0)
	v_sub_u32_e32 v1, v2, v1
	v_ashrrev_i32_e32 v2, 31, v1
	v_lshrrev_b32_e32 v2, 26, v2
	v_add_u32_e32 v2, v1, v2
	v_ashrrev_i32_e32 v3, 6, v2
	v_and_b32_e32 v2, 0xffffffc0, v2
	v_sub_u32_e32 v46, v1, v2
	v_lshlrev_b32_e32 v1, 4, v46
	v_lshl_add_u32 v55, v3, 10, v1
	v_ashrrev_i32_e32 v1, 31, v0
	v_lshrrev_b32_e32 v1, 22, v1
	v_add_u32_e32 v1, v0, v1
	v_and_b32_e32 v47, 0xfffffc00, v1
	v_sub_u32_e32 v58, v0, v47
	v_ashrrev_i32_e32 v2, 10, v1
	v_cmp_lt_i32_e32 vcc, 15, v58
	v_sub_u32_e32 v54, v0, v55
	v_addc_co_u32_e64 v0, s[22:23], 0, v2, vcc
	v_sub_u32_e32 v57, v0, v3
	v_cmp_lt_i32_e64 s[22:23], 15, v54
	s_and_saveexec_b64 s[74:75], s[22:23]
	s_cbranch_execz .LBB6_528
; %bb.525:                              ;   in Loop: Header=BB6_448 Depth=3
	v_add_u32_e32 v55, v55, v41
	v_ashrrev_i32_e32 v40, 31, v55
	s_mov_b64 s[76:77], 0
.LBB6_526:                              ;   Parent Loop BB6_53 Depth=1
                                        ;     Parent Loop BB6_89 Depth=2
                                        ;       Parent Loop BB6_448 Depth=3
                                        ; =>      This Inner Loop Header: Depth=4
	v_add_co_u32_e64 v0, s[22:23], v8, v55
	v_addc_co_u32_e64 v1, s[22:23], v9, v40, s[22:23]
	global_load_dwordx4 v[0:3], v[0:1], off glc slc
	v_add_co_u32_e64 v4, s[22:23], v52, v55
	v_addc_co_u32_e64 v5, s[22:23], v53, v40, s[22:23]
	v_add_co_u32_e64 v55, s[22:23], v55, v44
	v_sub_u32_e32 v54, v54, v44
	v_addc_co_u32_e64 v40, s[22:23], 0, v40, s[22:23]
	v_cmp_gt_i32_e64 s[22:23], 16, v54
	v_sub_u32_e32 v57, v57, v24
	s_or_b64 s[76:77], s[22:23], s[76:77]
	s_waitcnt vmcnt(0)
	global_store_dwordx4 v[4:5], v[0:3], off glc slc
	s_andn2_b64 exec, exec, s[76:77]
	s_cbranch_execnz .LBB6_526
; %bb.527:                              ;   in Loop: Header=BB6_448 Depth=3
	s_or_b64 exec, exec, s[76:77]
	buffer_load_dword v4, off, s[0:3], s33 offset:64 ; 4-byte Folded Reload
	buffer_load_dword v5, off, s[0:3], s33 offset:68 ; 4-byte Folded Reload
	;; [unrolled: 1-line block ×4, first 2 shown]
.LBB6_528:                              ;   in Loop: Header=BB6_448 Depth=3
	s_or_b64 exec, exec, s[74:75]
	v_and_b32_e32 v59, 15, v10
	v_cndmask_b32_e32 v55, v58, v59, vcc
	v_mov_b32_e32 v54, 0
	v_cmp_ne_u32_e64 s[22:23], 0, v55
	s_mov_b64 s[76:77], 0
                                        ; implicit-def: $vgpr40
                                        ; implicit-def: $vgpr56
	s_and_saveexec_b64 s[74:75], s[22:23]
	s_cbranch_execz .LBB6_530
; %bb.529:                              ;   in Loop: Header=BB6_448 Depth=3
	v_sub_u32_e32 v0, v58, v59
	v_cndmask_b32_e32 v0, 0, v0, vcc
	v_cmp_lt_i32_e32 vcc, 0, v57
	v_add3_u32 v54, v47, v41, v0
	v_cndmask_b32_e32 v0, 0, v24, vcc
	v_sub_u32_e32 v0, v0, v57
	v_lshl_add_u32 v40, v0, 6, v46
	v_ashrrev_i32_e32 v0, 31, v40
	v_lshrrev_b32_e32 v0, 26, v0
	v_add_u32_e32 v0, v40, v0
	v_ashrrev_i32_e32 v56, 6, v0
	s_mov_b64 s[76:77], exec
.LBB6_530:                              ;   in Loop: Header=BB6_448 Depth=3
	s_or_b64 exec, exec, s[74:75]
	s_and_b64 s[74:75], s[76:77], exec
.LBB6_531:                              ;   in Loop: Header=BB6_448 Depth=3
	s_or_b64 exec, exec, s[72:73]
	s_and_saveexec_b64 s[22:23], s[74:75]
	s_cbranch_execz .LBB6_540
.LBB6_532:                              ;   in Loop: Header=BB6_448 Depth=3
	v_ashrrev_i32_e32 v0, 31, v55
	v_lshrrev_b32_e32 v0, 21, v0
	v_add_u32_e32 v0, v55, v0
	v_ashrrev_i32_e32 v47, 11, v0
	v_sub_u32_e32 v41, v47, v56
	s_waitcnt vmcnt(0)
	v_ashrrev_i32_e32 v0, 31, v40
	v_cmp_lt_i32_e32 vcc, 0, v41
	v_lshrrev_b32_e32 v46, 26, v0
	s_and_saveexec_b64 s[72:73], vcc
	s_cbranch_execz .LBB6_536
; %bb.533:                              ;   in Loop: Header=BB6_448 Depth=3
	v_add_u32_e32 v0, v40, v46
	v_and_b32_e32 v0, 0xffffffc0, v0
	v_sub_u32_e32 v0, v40, v0
	v_lshlrev_b32_e32 v1, 11, v56
	v_mov_b32_e32 v62, v21
	v_add3_u32 v56, v54, v0, v1
	v_mov_b32_e32 v61, v20
	v_ashrrev_i32_e32 v57, 31, v56
	s_mov_b64 s[74:75], 0
.LBB6_534:                              ;   Parent Loop BB6_53 Depth=1
                                        ;     Parent Loop BB6_89 Depth=2
                                        ;       Parent Loop BB6_448 Depth=3
                                        ; =>      This Inner Loop Header: Depth=4
	v_add_co_u32_e32 v0, vcc, v56, v8
	v_addc_co_u32_e32 v1, vcc, v57, v9, vcc
	flat_load_ubyte v2, v[0:1] glc slc
	flat_load_ubyte v3, v[0:1] offset:64 glc slc
	flat_load_ubyte v4, v[0:1] offset:128 glc slc
	;; [unrolled: 1-line block ×31, first 2 shown]
	v_add_co_u32_e32 v0, vcc, v56, v52
	v_addc_co_u32_e32 v1, vcc, v57, v53, vcc
	v_add_co_u32_e32 v8, vcc, v8, v26
	v_addc_co_u32_e32 v9, vcc, 0, v9, vcc
	v_add_co_u32_e32 v52, vcc, v52, v26
	v_sub_u32_e32 v41, v41, v24
	v_addc_co_u32_e32 v53, vcc, 0, v53, vcc
	v_cmp_gt_i32_e32 vcc, 1, v41
	s_or_b64 s[74:75], vcc, s[74:75]
	s_waitcnt vmcnt(0) lgkmcnt(0)
	flat_store_byte v[0:1], v2 glc slc
	flat_store_byte v[0:1], v3 offset:64 glc slc
	flat_store_byte v[0:1], v4 offset:128 glc slc
	;; [unrolled: 1-line block ×31, first 2 shown]
	s_andn2_b64 exec, exec, s[74:75]
	s_cbranch_execnz .LBB6_534
; %bb.535:                              ;   in Loop: Header=BB6_448 Depth=3
	s_or_b64 exec, exec, s[74:75]
	buffer_load_dword v4, off, s[0:3], s33 offset:64 ; 4-byte Folded Reload
	buffer_load_dword v5, off, s[0:3], s33 offset:68 ; 4-byte Folded Reload
	;; [unrolled: 1-line block ×14, first 2 shown]
	v_mov_b32_e32 v20, v61
	v_mov_b32_e32 v21, v62
	v_lshlrev_b32_e32 v44, 10, v24
	v_mov_b32_e32 v29, 1
	v_mov_b32_e32 v34, 0xc8
	;; [unrolled: 1-line block ×3, first 2 shown]
.LBB6_536:                              ;   in Loop: Header=BB6_448 Depth=3
	s_or_b64 exec, exec, s[72:73]
	v_lshlrev_b32_e32 v8, 11, v47
	v_cmp_ne_u32_e32 vcc, v55, v8
	s_and_b64 exec, exec, vcc
	s_cbranch_execz .LBB6_540
; %bb.537:                              ;   in Loop: Header=BB6_448 Depth=3
	v_add_u32_e32 v0, v40, v46
	v_and_b32_e32 v0, 0xffffffc0, v0
	v_sub_u32_e32 v0, v40, v0
	v_lshlrev_b32_e32 v1, 6, v41
	v_sub_u32_e32 v0, v0, v1
	v_add_u32_e32 v8, v8, v0
	v_sub_u32_e32 v52, v55, v8
	v_cmp_lt_i32_e32 vcc, 0, v52
	s_and_b64 exec, exec, vcc
	s_cbranch_execz .LBB6_540
; %bb.538:                              ;   in Loop: Header=BB6_448 Depth=3
	v_add_u32_e32 v53, v8, v54
	s_trap 2
	ds_read_b64 v[8:9], v0
	v_ashrrev_i32_e32 v54, 31, v53
	s_mov_b64 s[72:73], 0
.LBB6_539:                              ;   Parent Loop BB6_53 Depth=1
                                        ;     Parent Loop BB6_89 Depth=2
                                        ;       Parent Loop BB6_448 Depth=3
                                        ; =>      This Inner Loop Header: Depth=4
	s_waitcnt lgkmcnt(0)
	v_add_co_u32_e32 v0, vcc, v8, v53
	v_addc_co_u32_e32 v1, vcc, v9, v54, vcc
	flat_load_ubyte v2, v[0:1] glc slc
	s_waitcnt vmcnt(0)
	v_add_co_u32_e32 v53, vcc, v53, v30
	v_sub_u32_e32 v52, v52, v30
	v_addc_co_u32_e32 v54, vcc, 0, v54, vcc
	v_cmp_gt_i32_e32 vcc, 1, v52
	s_or_b64 s[72:73], vcc, s[72:73]
	s_waitcnt lgkmcnt(0)
	flat_store_byte v[0:1], v2 glc slc
	s_andn2_b64 exec, exec, s[72:73]
	s_cbranch_execnz .LBB6_539
.LBB6_540:                              ;   in Loop: Header=BB6_448 Depth=3
	s_or_b64 exec, exec, s[22:23]
	buffer_load_dword v18, off, s[0:3], s33 offset:168 ; 4-byte Folded Reload
	buffer_load_dword v19, off, s[0:3], s33 offset:172 ; 4-byte Folded Reload
	v_cmp_lt_i32_e64 s[22:23], 0, v10
	s_and_saveexec_b64 s[72:73], s[6:7]
	s_cbranch_execz .LBB6_559
.LBB6_541:                              ;   in Loop: Header=BB6_448 Depth=3
	s_and_saveexec_b64 s[74:75], s[28:29]
	s_xor_b64 s[74:75], exec, s[74:75]
	s_cbranch_execz .LBB6_556
; %bb.542:                              ;   in Loop: Header=BB6_448 Depth=3
	s_and_saveexec_b64 s[76:77], s[12:13]
	s_cbranch_execz .LBB6_555
; %bb.543:                              ;   in Loop: Header=BB6_448 Depth=3
	s_mov_b64 s[88:89], exec
	v_mbcnt_lo_u32_b32 v0, s88, 0
	v_mbcnt_hi_u32_b32 v0, s89, v0
	v_cmp_eq_u32_e32 vcc, 0, v0
	s_waitcnt vmcnt(0) lgkmcnt(0)
	buffer_wbinvl1_vol
	s_and_saveexec_b64 s[78:79], vcc
	s_cbranch_execz .LBB6_545
; %bb.544:                              ;   in Loop: Header=BB6_448 Depth=3
	s_bcnt1_i32_b64 s88, s[88:89]
	v_mov_b32_e32 v0, s88
	v_mov_b32_e32 v1, v12
	ds_add_u64 v0, v[0:1]
	s_trap 2
.LBB6_545:                              ;   in Loop: Header=BB6_448 Depth=3
	s_or_b64 exec, exec, s[78:79]
	s_trap 2
	ds_read_b64 v[0:1], v0
	s_waitcnt lgkmcnt(0)
	v_add_co_u32_e32 v20, vcc, v20, v24
	v_addc_co_u32_e32 v21, vcc, 0, v21, vcc
	v_cmp_lt_u64_e32 vcc, v[0:1], v[20:21]
	s_and_saveexec_b64 s[78:79], vcc
	s_cbranch_execz .LBB6_554
; %bb.546:                              ;   in Loop: Header=BB6_448 Depth=3
	s_mov_b32 s34, 0
	s_mov_b64 s[88:89], 0
                                        ; implicit-def: $sgpr90_sgpr91
                                        ; implicit-def: $sgpr92_sgpr93
	s_branch .LBB6_548
.LBB6_547:                              ;   in Loop: Header=BB6_548 Depth=4
	s_or_b64 exec, exec, s[30:31]
	s_and_b64 s[94:95], exec, vcc
	s_or_b64 s[88:89], s[94:95], s[88:89]
	s_andn2_b64 s[90:91], s[90:91], exec
	s_and_b64 s[94:95], s[92:93], exec
	s_or_b64 s[90:91], s[90:91], s[94:95]
	s_andn2_b64 exec, exec, s[88:89]
	s_cbranch_execz .LBB6_552
.LBB6_548:                              ;   Parent Loop BB6_53 Depth=1
                                        ;     Parent Loop BB6_89 Depth=2
                                        ;       Parent Loop BB6_448 Depth=3
                                        ; =>      This Inner Loop Header: Depth=4
	s_add_i32 s34, s34, 1
	s_cmpk_lg_i32 s34, 0x2710
	s_cselect_b64 s[94:95], -1, 0
	s_and_b64 vcc, exec, s[94:95]
	s_cbranch_vccz .LBB6_550
; %bb.549:                              ;   in Loop: Header=BB6_548 Depth=4
	s_mov_b64 vcc, -1
	s_or_b64 s[92:93], s[92:93], exec
	s_and_saveexec_b64 s[30:31], s[94:95]
	s_cbranch_execz .LBB6_547
	s_branch .LBB6_551
.LBB6_550:                              ;   in Loop: Header=BB6_548 Depth=4
	s_trap 2
	ds_read_b64 v[0:1], v0
	s_andn2_b64 s[94:95], s[94:95], exec
	s_mov_b32 s34, 0
	s_waitcnt lgkmcnt(0)
	flat_load_dword v0, v[0:1] glc
	s_waitcnt vmcnt(0) lgkmcnt(0)
	buffer_wbinvl1_vol
	v_cmp_eq_u32_e32 vcc, 0, v0
	s_and_b64 vcc, vcc, exec
	s_or_b64 s[94:95], s[94:95], vcc
	s_mov_b64 vcc, -1
	s_or_b64 s[92:93], s[92:93], exec
	s_and_saveexec_b64 s[30:31], s[94:95]
	s_cbranch_execz .LBB6_547
.LBB6_551:                              ;   in Loop: Header=BB6_548 Depth=4
	s_sleep 1
	s_trap 2
	ds_read_b64 v[0:1], v0
	s_waitcnt lgkmcnt(0)
	s_andn2_b64 s[92:93], s[92:93], exec
	v_cmp_ge_u64_e32 vcc, v[0:1], v[20:21]
	s_orn2_b64 vcc, vcc, exec
	s_branch .LBB6_547
.LBB6_552:                              ;   in Loop: Header=BB6_448 Depth=3
	s_or_b64 exec, exec, s[88:89]
	s_and_saveexec_b64 s[88:89], s[90:91]
	s_xor_b64 s[88:89], exec, s[88:89]
	s_cbranch_execz .LBB6_554
; %bb.553:                              ;   in Loop: Header=BB6_448 Depth=3
	ds_write_b32 v0, v29
	s_trap 2
.LBB6_554:                              ;   in Loop: Header=BB6_448 Depth=3
	s_or_b64 exec, exec, s[78:79]
	;;#ASMSTART
	s_wakeup
	;;#ASMEND
.LBB6_555:                              ;   in Loop: Header=BB6_448 Depth=3
	s_or_b64 exec, exec, s[76:77]
.LBB6_556:                              ;   in Loop: Header=BB6_448 Depth=3
	s_andn2_saveexec_b64 s[74:75], s[74:75]
	s_cbranch_execz .LBB6_558
; %bb.557:                              ;   in Loop: Header=BB6_448 Depth=3
	s_waitcnt vmcnt(0) lgkmcnt(0)
	buffer_wbinvl1_vol
	s_barrier
.LBB6_558:                              ;   in Loop: Header=BB6_448 Depth=3
	s_or_b64 exec, exec, s[74:75]
.LBB6_559:                              ;   in Loop: Header=BB6_448 Depth=3
	s_or_b64 exec, exec, s[72:73]
	v_and_b32_e32 v0, 16, v39
	v_cmp_ne_u32_e32 vcc, 0, v0
	s_and_b64 s[72:73], vcc, s[22:23]
	s_and_saveexec_b64 s[22:23], s[72:73]
	s_cbranch_execz .LBB6_561
; %bb.560:                              ;   in Loop: Header=BB6_448 Depth=3
	s_waitcnt vmcnt(0) lgkmcnt(0)
	buffer_wbinvl1_vol
.LBB6_561:                              ;   in Loop: Header=BB6_448 Depth=3
	s_or_b64 exec, exec, s[22:23]
	v_and_b32_e32 v0, 32, v39
	v_cmp_ne_u32_e32 vcc, 0, v0
	s_and_saveexec_b64 s[22:23], vcc
	s_cbranch_execz .LBB6_447
; %bb.562:                              ;   in Loop: Header=BB6_448 Depth=3
	v_add_co_u32_e32 v31, vcc, 2, v31
	v_addc_co_u32_e32 v32, vcc, 0, v32, vcc
	flat_store_dwordx2 v[16:17], v[31:32]
	s_branch .LBB6_447
.LBB6_563:                              ;   in Loop: Header=BB6_89 Depth=2
	s_or_b64 exec, exec, s[60:61]
.LBB6_564:                              ;   in Loop: Header=BB6_89 Depth=2
	s_or_b64 exec, exec, s[58:59]
	v_cmp_gt_i32_e32 vcc, 2, v8
	s_mov_b64 s[58:59], exec
	buffer_load_dword v61, off, s[0:3], s33 offset:224 ; 4-byte Folded Reload
	s_and_b64 s[22:23], s[58:59], vcc
	s_mov_b64 exec, s[22:23]
	s_cbranch_execz .LBB6_88
; %bb.565:                              ;   in Loop: Header=BB6_89 Depth=2
	v_cmp_eq_u32_e64 s[62:63], 0, v8
	s_mov_b64 s[60:61], 0
	s_branch .LBB6_567
.LBB6_566:                              ;   in Loop: Header=BB6_567 Depth=3
	s_or_b64 exec, exec, s[22:23]
	v_add_u32_e32 v11, v33, v11
	s_mov_b64 s[62:63], 0
	s_andn2_b64 exec, exec, s[60:61]
	s_cbranch_execz .LBB6_87
.LBB6_567:                              ;   Parent Loop BB6_53 Depth=1
                                        ;     Parent Loop BB6_89 Depth=2
                                        ; =>    This Loop Header: Depth=3
                                        ;         Child Loop BB6_573 Depth 4
                                        ;         Child Loop BB6_597 Depth 4
	v_and_b32_e32 v0, 4, v39
	v_cmp_ne_u32_e32 vcc, 0, v0
	s_and_saveexec_b64 s[72:73], vcc
	s_cbranch_execz .LBB6_589
; %bb.568:                              ;   in Loop: Header=BB6_567 Depth=3
	v_add_co_u32_e32 v8, vcc, 2, v31
	v_addc_co_u32_e32 v9, vcc, 0, v32, vcc
	s_waitcnt vmcnt(0)
	v_cmp_lt_u64_e32 vcc, v[22:23], v[8:9]
	s_and_saveexec_b64 s[74:75], vcc
	s_cbranch_execz .LBB6_580
; %bb.569:                              ;   in Loop: Header=BB6_567 Depth=3
	v_and_b32_e32 v0, 64, v39
	s_mov_b32 s38, 0
	v_cmp_eq_u32_e32 vcc, 0, v0
	s_mov_b64 s[76:77], 0
                                        ; implicit-def: $sgpr78_sgpr79
                                        ; implicit-def: $sgpr88_sgpr89
                                        ; implicit-def: $sgpr90_sgpr91
	s_branch .LBB6_573
.LBB6_570:                              ;   in Loop: Header=BB6_573 Depth=4
	s_waitcnt vmcnt(0) lgkmcnt(0)
	v_cmp_ge_u64_e64 s[22:23], v[22:23], v[8:9]
	s_or_b64 s[30:31], s[30:31], exec
	s_orn2_b64 s[94:95], s[22:23], exec
.LBB6_571:                              ;   in Loop: Header=BB6_573 Depth=4
	s_or_b64 exec, exec, s[36:37]
	s_andn2_b64 s[22:23], s[90:91], exec
	s_and_b64 s[90:91], s[30:31], exec
	s_or_b64 s[90:91], s[22:23], s[90:91]
	s_andn2_b64 s[22:23], s[88:89], exec
	s_and_b64 s[88:89], s[94:95], exec
	s_or_b64 s[88:89], s[22:23], s[88:89]
.LBB6_572:                              ;   in Loop: Header=BB6_573 Depth=4
	s_or_b64 exec, exec, s[92:93]
	s_and_b64 s[22:23], exec, s[88:89]
	s_or_b64 s[76:77], s[22:23], s[76:77]
	s_andn2_b64 s[22:23], s[78:79], exec
	s_and_b64 s[78:79], s[90:91], exec
	s_or_b64 s[78:79], s[22:23], s[78:79]
	s_andn2_b64 exec, exec, s[76:77]
	s_cbranch_execz .LBB6_577
.LBB6_573:                              ;   Parent Loop BB6_53 Depth=1
                                        ;     Parent Loop BB6_89 Depth=2
                                        ;       Parent Loop BB6_567 Depth=3
                                        ; =>      This Inner Loop Header: Depth=4
	s_sleep 1
	s_waitcnt vmcnt(0) lgkmcnt(0)
	flat_load_dwordx2 v[22:23], v[16:17] glc
	s_or_b64 s[90:91], s[90:91], exec
	s_or_b64 s[88:89], s[88:89], exec
                                        ; implicit-def: $vgpr49
	s_and_saveexec_b64 s[92:93], vcc
	s_cbranch_execz .LBB6_572
; %bb.574:                              ;   in Loop: Header=BB6_573 Depth=4
	s_cmpk_lt_i32 s38, 0x270f
	s_cselect_b64 s[34:35], -1, 0
	s_cmpk_gt_i32 s38, 0x270e
	s_mov_b64 s[94:95], -1
	s_cbranch_scc0 .LBB6_576
; %bb.575:                              ;   in Loop: Header=BB6_573 Depth=4
	s_trap 2
	ds_read_b64 v[0:1], v0
	s_andn2_b64 s[34:35], s[34:35], exec
	s_mov_b32 s38, 0
	s_mov_b64 s[30:31], 0
	s_waitcnt vmcnt(0) lgkmcnt(0)
	flat_load_dword v49, v[0:1] glc
	s_waitcnt vmcnt(0) lgkmcnt(0)
	buffer_wbinvl1_vol
	v_cmp_eq_u32_e64 s[22:23], 0, v49
	s_and_b64 s[22:23], s[22:23], exec
	s_or_b64 s[34:35], s[34:35], s[22:23]
	s_and_saveexec_b64 s[36:37], s[34:35]
	s_cbranch_execz .LBB6_571
	s_branch .LBB6_570
.LBB6_576:                              ;   in Loop: Header=BB6_573 Depth=4
	s_add_i32 s38, s38, 1
	s_mov_b64 s[30:31], -1
                                        ; implicit-def: $vgpr49
	s_and_saveexec_b64 s[36:37], s[34:35]
	s_cbranch_execz .LBB6_571
	s_branch .LBB6_570
.LBB6_577:                              ;   in Loop: Header=BB6_567 Depth=3
	s_or_b64 exec, exec, s[76:77]
	s_xor_b64 s[22:23], s[78:79], -1
	s_and_saveexec_b64 s[76:77], s[22:23]
	s_xor_b64 s[22:23], exec, s[76:77]
	s_cbranch_execz .LBB6_579
; %bb.578:                              ;   in Loop: Header=BB6_567 Depth=3
	v_or_b32_e32 v39, 64, v39
	s_waitcnt lgkmcnt(0)
	ds_write_b32 v0, v49
	s_trap 2
.LBB6_579:                              ;   in Loop: Header=BB6_567 Depth=3
	s_or_b64 exec, exec, s[22:23]
.LBB6_580:                              ;   in Loop: Header=BB6_567 Depth=3
	s_or_b64 exec, exec, s[74:75]
	v_and_b32_e32 v0, 0x100, v39
	v_cmp_ne_u32_e32 vcc, 0, v0
	v_and_b32_e32 v54, 7, v31
	s_mov_b64 s[22:23], -1
	;;#ASMSTART
	s_wakeup
	;;#ASMEND
                                        ; implicit-def: $vgpr48_vgpr49
	s_and_saveexec_b64 s[74:75], vcc
	s_cbranch_execz .LBB6_584
; %bb.581:                              ;   in Loop: Header=BB6_567 Depth=3
	v_mad_u64_u32 v[52:53], s[22:23], v54, 24, v[4:5]
                                        ; implicit-def: $vgpr48_vgpr49
	flat_load_dword v0, v[52:53]
	s_waitcnt vmcnt(0) lgkmcnt(0)
	v_cmp_ne_u32_e32 vcc, 1, v0
	v_cmp_eq_u32_e64 s[22:23], 1, v0
	s_and_saveexec_b64 s[76:77], s[22:23]
	s_cbranch_execz .LBB6_583
; %bb.582:                              ;   in Loop: Header=BB6_567 Depth=3
	flat_load_dword v48, v[52:53] offset:4 glc
	s_waitcnt vmcnt(0) lgkmcnt(0)
	v_ashrrev_i32_e32 v49, 31, v48
.LBB6_583:                              ;   in Loop: Header=BB6_567 Depth=3
	s_or_b64 exec, exec, s[76:77]
	s_orn2_b64 s[22:23], vcc, exec
.LBB6_584:                              ;   in Loop: Header=BB6_567 Depth=3
	s_or_b64 exec, exec, s[74:75]
	s_and_saveexec_b64 s[74:75], s[22:23]
; %bb.585:                              ;   in Loop: Header=BB6_567 Depth=3
	v_mad_i64_i32 v[48:49], s[22:23], v54, v60, 0
; %bb.586:                              ;   in Loop: Header=BB6_567 Depth=3
	s_or_b64 exec, exec, s[74:75]
	v_add_co_u32_e32 v0, vcc, v14, v48
	v_addc_co_u32_e32 v1, vcc, v15, v49, vcc
	ds_write_b64 v0, v[0:1] offset:720
	v_and_b32_e32 v0, 0x2000, v39
	v_cmp_ne_u32_e32 vcc, 0, v0
	s_and_saveexec_b64 s[22:23], vcc
	s_cbranch_execz .LBB6_588
; %bb.587:                              ;   in Loop: Header=BB6_567 Depth=3
	ds_read_b64 v[0:1], v0 offset:872
	s_waitcnt lgkmcnt(0)
	v_add_co_u32_e32 v0, vcc, 1, v0
	v_addc_co_u32_e32 v1, vcc, 0, v1, vcc
	ds_write_b64 v0, v[0:1] offset:872
.LBB6_588:                              ;   in Loop: Header=BB6_567 Depth=3
	s_or_b64 exec, exec, s[22:23]
	v_mov_b32_e32 v32, v9
	v_mov_b32_e32 v31, v8
.LBB6_589:                              ;   in Loop: Header=BB6_567 Depth=3
	s_or_b64 exec, exec, s[72:73]
	s_xor_b64 s[22:23], s[62:63], -1
	s_and_b64 s[22:23], exec, s[22:23]
	s_or_b64 s[60:61], s[22:23], s[60:61]
	s_and_saveexec_b64 s[22:23], s[6:7]
	s_cbranch_execz .LBB6_608
; %bb.590:                              ;   in Loop: Header=BB6_567 Depth=3
	s_and_saveexec_b64 s[62:63], s[28:29]
	s_xor_b64 s[62:63], exec, s[62:63]
	s_cbranch_execz .LBB6_605
; %bb.591:                              ;   in Loop: Header=BB6_567 Depth=3
	s_and_saveexec_b64 s[72:73], s[12:13]
	s_cbranch_execz .LBB6_604
; %bb.592:                              ;   in Loop: Header=BB6_567 Depth=3
	s_mov_b64 s[76:77], exec
	v_mbcnt_lo_u32_b32 v0, s76, 0
	v_mbcnt_hi_u32_b32 v0, s77, v0
	v_cmp_eq_u32_e32 vcc, 0, v0
	s_waitcnt vmcnt(0) lgkmcnt(0)
	buffer_wbinvl1_vol
	s_and_saveexec_b64 s[74:75], vcc
	s_cbranch_execz .LBB6_594
; %bb.593:                              ;   in Loop: Header=BB6_567 Depth=3
	s_bcnt1_i32_b64 s76, s[76:77]
	v_mov_b32_e32 v0, s76
	v_mov_b32_e32 v1, v12
	ds_add_u64 v0, v[0:1]
	s_trap 2
.LBB6_594:                              ;   in Loop: Header=BB6_567 Depth=3
	s_or_b64 exec, exec, s[74:75]
	s_trap 2
	ds_read_b64 v[0:1], v0
	s_waitcnt lgkmcnt(0)
	v_add_co_u32_e32 v20, vcc, v20, v24
	v_addc_co_u32_e32 v21, vcc, 0, v21, vcc
	v_cmp_lt_u64_e32 vcc, v[0:1], v[20:21]
	s_and_saveexec_b64 s[74:75], vcc
	s_cbranch_execz .LBB6_603
; %bb.595:                              ;   in Loop: Header=BB6_567 Depth=3
	s_mov_b32 s30, 0
	s_mov_b64 s[76:77], 0
                                        ; implicit-def: $sgpr78_sgpr79
                                        ; implicit-def: $sgpr88_sgpr89
	s_branch .LBB6_597
.LBB6_596:                              ;   in Loop: Header=BB6_597 Depth=4
	s_or_b64 exec, exec, s[92:93]
	s_and_b64 s[90:91], exec, s[94:95]
	s_or_b64 s[76:77], s[90:91], s[76:77]
	s_andn2_b64 s[78:79], s[78:79], exec
	s_and_b64 s[90:91], s[88:89], exec
	s_or_b64 s[78:79], s[78:79], s[90:91]
	s_andn2_b64 exec, exec, s[76:77]
	s_cbranch_execz .LBB6_601
.LBB6_597:                              ;   Parent Loop BB6_53 Depth=1
                                        ;     Parent Loop BB6_89 Depth=2
                                        ;       Parent Loop BB6_567 Depth=3
                                        ; =>      This Inner Loop Header: Depth=4
	s_add_i32 s30, s30, 1
	s_cmpk_lg_i32 s30, 0x2710
	s_cselect_b64 s[90:91], -1, 0
	s_and_b64 vcc, exec, s[90:91]
	s_cbranch_vccz .LBB6_599
; %bb.598:                              ;   in Loop: Header=BB6_597 Depth=4
	s_mov_b64 s[94:95], -1
	s_or_b64 s[88:89], s[88:89], exec
	s_and_saveexec_b64 s[92:93], s[90:91]
	s_cbranch_execz .LBB6_596
	s_branch .LBB6_600
.LBB6_599:                              ;   in Loop: Header=BB6_597 Depth=4
	s_trap 2
	ds_read_b64 v[0:1], v0
	s_andn2_b64 s[90:91], s[90:91], exec
	s_mov_b32 s30, 0
	s_waitcnt lgkmcnt(0)
	flat_load_dword v0, v[0:1] glc
	s_waitcnt vmcnt(0) lgkmcnt(0)
	buffer_wbinvl1_vol
	v_cmp_eq_u32_e32 vcc, 0, v0
	s_and_b64 s[92:93], vcc, exec
	s_or_b64 s[90:91], s[90:91], s[92:93]
	s_mov_b64 s[94:95], -1
	s_or_b64 s[88:89], s[88:89], exec
	s_and_saveexec_b64 s[92:93], s[90:91]
	s_cbranch_execz .LBB6_596
.LBB6_600:                              ;   in Loop: Header=BB6_597 Depth=4
	s_sleep 1
	s_trap 2
	ds_read_b64 v[0:1], v0
	s_waitcnt lgkmcnt(0)
	s_andn2_b64 s[88:89], s[88:89], exec
	v_cmp_ge_u64_e32 vcc, v[0:1], v[20:21]
	s_orn2_b64 s[94:95], vcc, exec
	s_branch .LBB6_596
.LBB6_601:                              ;   in Loop: Header=BB6_567 Depth=3
	s_or_b64 exec, exec, s[76:77]
	s_and_saveexec_b64 s[76:77], s[78:79]
	s_xor_b64 s[76:77], exec, s[76:77]
	s_cbranch_execz .LBB6_603
; %bb.602:                              ;   in Loop: Header=BB6_567 Depth=3
	ds_write_b32 v0, v29
	s_trap 2
.LBB6_603:                              ;   in Loop: Header=BB6_567 Depth=3
	s_or_b64 exec, exec, s[74:75]
	;;#ASMSTART
	s_wakeup
	;;#ASMEND
.LBB6_604:                              ;   in Loop: Header=BB6_567 Depth=3
	s_or_b64 exec, exec, s[72:73]
.LBB6_605:                              ;   in Loop: Header=BB6_567 Depth=3
	s_andn2_saveexec_b64 s[62:63], s[62:63]
	s_cbranch_execz .LBB6_607
; %bb.606:                              ;   in Loop: Header=BB6_567 Depth=3
	s_waitcnt vmcnt(0) lgkmcnt(0)
	buffer_wbinvl1_vol
	s_barrier
.LBB6_607:                              ;   in Loop: Header=BB6_567 Depth=3
	s_or_b64 exec, exec, s[62:63]
.LBB6_608:                              ;   in Loop: Header=BB6_567 Depth=3
	s_or_b64 exec, exec, s[22:23]
	v_sub_u32_e32 v0, v25, v11
	v_min_i32_e32 v33, v33, v0
	s_trap 2
	ds_read_b32 v0, v0
	v_cmp_lt_i32_e32 vcc, 0, v33
	s_waitcnt lgkmcnt(0)
	v_readfirstlane_b32 s22, v0
	s_cmp_eq_u32 s22, 0
	s_cselect_b64 s[22:23], -1, 0
	v_and_b32_e32 v0, 16, v39
	s_and_b64 s[22:23], vcc, s[22:23]
	v_cmp_ne_u32_e32 vcc, 0, v0
	s_and_b64 s[62:63], vcc, s[22:23]
	s_and_saveexec_b64 s[22:23], s[62:63]
	s_cbranch_execz .LBB6_610
; %bb.609:                              ;   in Loop: Header=BB6_567 Depth=3
	s_waitcnt vmcnt(0)
	buffer_wbinvl1_vol
.LBB6_610:                              ;   in Loop: Header=BB6_567 Depth=3
	s_or_b64 exec, exec, s[22:23]
	v_and_b32_e32 v0, 32, v39
	v_cmp_ne_u32_e32 vcc, 0, v0
	s_and_saveexec_b64 s[22:23], vcc
	s_cbranch_execz .LBB6_566
; %bb.611:                              ;   in Loop: Header=BB6_567 Depth=3
	v_add_co_u32_e32 v31, vcc, 2, v31
	v_addc_co_u32_e32 v32, vcc, 0, v32, vcc
	flat_store_dwordx2 v[16:17], v[31:32]
	s_branch .LBB6_566
.LBB6_612:                              ;   in Loop: Header=BB6_53 Depth=1
	s_or_b64 exec, exec, s[46:47]
	buffer_load_dword v48, off, s[0:3], s33 offset:260 ; 4-byte Folded Reload
	buffer_load_dword v49, off, s[0:3], s33 offset:264 ; 4-byte Folded Reload
	;; [unrolled: 1-line block ×4, first 2 shown]
	v_ashrrev_i32_e32 v51, 31, v38
.LBB6_613:                              ;   in Loop: Header=BB6_53 Depth=1
	s_or_b64 exec, exec, s[44:45]
.LBB6_614:                              ;   in Loop: Header=BB6_53 Depth=1
	s_or_b64 exec, exec, s[42:43]
	s_add_i32 s22, s26, 1
	s_add_i32 s49, s49, 1
	s_cmp_eq_u32 s26, s50
	s_cbranch_scc1 .LBB6_617
; %bb.615:                              ;   in Loop: Header=BB6_53 Depth=1
	s_mov_b32 s26, s22
	s_branch .LBB6_53
.LBB6_616:
	buffer_load_dword v4, off, s[0:3], s33 offset:64 ; 4-byte Folded Reload
	buffer_load_dword v5, off, s[0:3], s33 offset:68 ; 4-byte Folded Reload
	buffer_load_dword v6, off, s[0:3], s33 offset:72 ; 4-byte Folded Reload
	buffer_load_dword v7, off, s[0:3], s33 offset:76 ; 4-byte Folded Reload
.LBB6_617:
	v_and_b32_e32 v0, 0x800, v39
	v_cmp_eq_u32_e32 vcc, 0, v0
	s_and_saveexec_b64 s[6:7], vcc
	s_cbranch_execz .LBB6_650
; %bb.618:
	v_and_b32_e32 v0, 48, v39
	v_cmp_ne_u32_e32 vcc, 0, v0
	s_and_saveexec_b64 s[4:5], vcc
	s_cbranch_execz .LBB6_620
; %bb.619:
	buffer_load_dword v0, off, s[0:3], s33 offset:276 ; 4-byte Folded Reload
	buffer_load_dword v1, off, s[0:3], s33 offset:280 ; 4-byte Folded Reload
	s_waitcnt vmcnt(0)
	flat_store_dwordx2 v[0:1], v[31:32] offset:104
.LBB6_620:
	s_or_b64 exec, exec, s[4:5]
	s_movk_i32 s4, 0x88
	v_and_b32_e32 v0, 0x88, v39
	v_cmp_eq_u32_e32 vcc, s4, v0
	s_and_saveexec_b64 s[10:11], vcc
	s_cbranch_execz .LBB6_630
; %bb.621:
	v_add_u32_e32 v0, 6, v31
	v_and_b32_e32 v0, 7, v0
	s_waitcnt vmcnt(0)
	v_mad_u64_u32 v[2:3], s[4:5], v0, 24, v[4:5]
	v_and_b32_e32 v4, 64, v39
	v_cmp_eq_u32_e64 s[4:5], 0, v4
	flat_load_dwordx2 v[0:1], v[2:3] offset:8 glc
	s_waitcnt vmcnt(0)
	s_mov_b32 s22, 0
	s_waitcnt lgkmcnt(0)
	v_cmp_ne_u64_e32 vcc, -1, v[0:1]
	s_and_b64 s[4:5], vcc, s[4:5]
	s_and_b64 exec, exec, s[4:5]
	s_cbranch_execz .LBB6_630
; %bb.622:
	s_mov_b64 s[4:5], 0
                                        ; implicit-def: $sgpr12_sgpr13
                                        ; implicit-def: $sgpr14_sgpr15
	s_branch .LBB6_625
.LBB6_623:                              ;   in Loop: Header=BB6_625 Depth=1
	flat_load_dwordx2 v[4:5], v[2:3] offset:8 glc
	s_waitcnt vmcnt(0)
	s_andn2_b64 s[14:15], s[14:15], exec
	s_waitcnt lgkmcnt(0)
	v_cmp_eq_u64_e32 vcc, -1, v[4:5]
	s_orn2_b64 s[18:19], vcc, exec
.LBB6_624:                              ;   in Loop: Header=BB6_625 Depth=1
	s_or_b64 exec, exec, s[20:21]
	s_and_b64 s[16:17], exec, s[18:19]
	s_or_b64 s[4:5], s[16:17], s[4:5]
	s_andn2_b64 s[12:13], s[12:13], exec
	s_and_b64 s[16:17], s[14:15], exec
	s_or_b64 s[12:13], s[12:13], s[16:17]
	s_andn2_b64 exec, exec, s[4:5]
	s_cbranch_execz .LBB6_628
.LBB6_625:                              ; =>This Inner Loop Header: Depth=1
	s_cmpk_lt_i32 s22, 0x270f
	s_cselect_b64 s[16:17], -1, 0
	s_and_b64 vcc, exec, s[16:17]
	s_cbranch_vccnz .LBB6_627
; %bb.626:                              ;   in Loop: Header=BB6_625 Depth=1
	s_trap 2
	ds_read_b64 v[0:1], v0
	s_andn2_b64 s[16:17], s[16:17], exec
	s_mov_b32 s22, 0
	s_waitcnt lgkmcnt(0)
	flat_load_dword v0, v[0:1] glc
	s_waitcnt vmcnt(0) lgkmcnt(0)
	buffer_wbinvl1_vol
	v_cmp_eq_u32_e32 vcc, 0, v0
	s_and_b64 s[18:19], vcc, exec
	s_or_b64 s[16:17], s[16:17], s[18:19]
	s_mov_b64 s[18:19], -1
	s_or_b64 s[14:15], s[14:15], exec
	s_and_saveexec_b64 s[20:21], s[16:17]
	s_cbranch_execz .LBB6_624
	s_branch .LBB6_623
.LBB6_627:                              ;   in Loop: Header=BB6_625 Depth=1
	s_add_i32 s22, s22, 1
                                        ; implicit-def: $vgpr0
	s_mov_b64 s[18:19], -1
	s_or_b64 s[14:15], s[14:15], exec
	s_and_saveexec_b64 s[20:21], s[16:17]
	s_cbranch_execz .LBB6_624
	s_branch .LBB6_623
.LBB6_628:
	s_or_b64 exec, exec, s[4:5]
	s_and_saveexec_b64 s[4:5], s[12:13]
	s_xor_b64 s[4:5], exec, s[4:5]
	s_cbranch_execz .LBB6_630
; %bb.629:
	ds_write_b32 v0, v0
	s_trap 2
.LBB6_630:
	s_or_b64 exec, exec, s[10:11]
	v_and_b32_e32 v0, 0x2000, v39
	v_cmp_ne_u32_e32 vcc, 0, v0
	s_and_saveexec_b64 s[4:5], vcc
	s_cbranch_execz .LBB6_632
; %bb.631:
	s_trap 2
	ds_read_b64 v[0:1], v0
	buffer_load_dword v2, off, s[0:3], s33 offset:300 ; 4-byte Folded Reload
	buffer_load_dword v3, off, s[0:3], s33 offset:304 ; 4-byte Folded Reload
	s_waitcnt vmcnt(0) lgkmcnt(0)
	flat_store_dwordx2 v[2:3], v[0:1] offset:16
.LBB6_632:
	s_or_b64 exec, exec, s[4:5]
	v_cmp_ne_u32_e32 vcc, 64, v61
	s_and_b64 exec, exec, vcc
	s_cbranch_execz .LBB6_650
; %bb.633:
	buffer_load_dword v0, off, s[0:3], s33 offset:288 ; 4-byte Folded Reload
	s_waitcnt vmcnt(0)
	v_cmp_ne_u32_sdwa s[4:5], v61, v0 src0_sel:DWORD src1_sel:WORD_0
	s_and_saveexec_b64 s[10:11], s[4:5]
	s_xor_b64 s[4:5], exec, s[10:11]
	s_cbranch_execz .LBB6_648
; %bb.634:
	buffer_load_dword v0, off, s[0:3], s33 offset:284 ; 4-byte Folded Reload
	s_waitcnt vmcnt(0)
	v_and_b32_e32 v0, 63, v0
	v_cmp_eq_u32_e32 vcc, 0, v0
	s_and_saveexec_b64 s[10:11], vcc
	s_cbranch_execz .LBB6_647
; %bb.635:
	s_mov_b64 s[14:15], exec
	v_mbcnt_lo_u32_b32 v0, s14, 0
	v_mbcnt_hi_u32_b32 v0, s15, v0
	v_cmp_eq_u32_e32 vcc, 0, v0
	s_waitcnt lgkmcnt(0)
	buffer_wbinvl1_vol
	s_and_saveexec_b64 s[12:13], vcc
	s_cbranch_execz .LBB6_637
; %bb.636:
	s_bcnt1_i32_b64 s14, s[14:15]
	v_mov_b32_e32 v0, s14
	v_mov_b32_e32 v1, 0
	ds_add_u64 v0, v[0:1]
	s_trap 2
.LBB6_637:
	s_or_b64 exec, exec, s[12:13]
	v_lshrrev_b32_e32 v0, 6, v61
	s_trap 2
	ds_read_b64 v[2:3], v0
	s_waitcnt lgkmcnt(0)
	v_add_co_u32_e32 v0, vcc, v20, v0
	v_addc_co_u32_e32 v1, vcc, 0, v21, vcc
	v_cmp_lt_u64_e32 vcc, v[2:3], v[0:1]
	s_and_saveexec_b64 s[12:13], vcc
	s_cbranch_execz .LBB6_646
; %bb.638:
	s_mov_b32 s28, 0
	s_mov_b64 s[14:15], 0
                                        ; implicit-def: $sgpr16_sgpr17
                                        ; implicit-def: $sgpr18_sgpr19
	s_branch .LBB6_640
.LBB6_639:                              ;   in Loop: Header=BB6_640 Depth=1
	s_or_b64 exec, exec, s[22:23]
	s_and_b64 s[20:21], exec, s[26:27]
	s_or_b64 s[14:15], s[20:21], s[14:15]
	s_andn2_b64 s[16:17], s[16:17], exec
	s_and_b64 s[20:21], s[18:19], exec
	s_or_b64 s[16:17], s[16:17], s[20:21]
	s_andn2_b64 exec, exec, s[14:15]
	s_cbranch_execz .LBB6_644
.LBB6_640:                              ; =>This Inner Loop Header: Depth=1
	s_add_i32 s28, s28, 1
	s_cmpk_lg_i32 s28, 0x2710
	s_cselect_b64 s[20:21], -1, 0
	s_and_b64 vcc, exec, s[20:21]
	s_cbranch_vccz .LBB6_642
; %bb.641:                              ;   in Loop: Header=BB6_640 Depth=1
	s_mov_b64 s[26:27], -1
	s_or_b64 s[18:19], s[18:19], exec
	s_and_saveexec_b64 s[22:23], s[20:21]
	s_cbranch_execz .LBB6_639
	s_branch .LBB6_643
.LBB6_642:                              ;   in Loop: Header=BB6_640 Depth=1
	s_trap 2
	ds_read_b64 v[2:3], v0
	s_andn2_b64 s[20:21], s[20:21], exec
	s_mov_b32 s28, 0
	s_waitcnt lgkmcnt(0)
	flat_load_dword v2, v[2:3] glc
	s_waitcnt vmcnt(0) lgkmcnt(0)
	buffer_wbinvl1_vol
	v_cmp_eq_u32_e32 vcc, 0, v2
	s_and_b64 s[22:23], vcc, exec
	s_or_b64 s[20:21], s[20:21], s[22:23]
	s_mov_b64 s[26:27], -1
	s_or_b64 s[18:19], s[18:19], exec
	s_and_saveexec_b64 s[22:23], s[20:21]
	s_cbranch_execz .LBB6_639
.LBB6_643:                              ;   in Loop: Header=BB6_640 Depth=1
	s_sleep 1
	s_trap 2
	ds_read_b64 v[2:3], v0
	s_waitcnt lgkmcnt(0)
	s_andn2_b64 s[18:19], s[18:19], exec
	v_cmp_ge_u64_e32 vcc, v[2:3], v[0:1]
	s_orn2_b64 s[26:27], vcc, exec
	s_branch .LBB6_639
.LBB6_644:
	s_or_b64 exec, exec, s[14:15]
	s_and_saveexec_b64 s[14:15], s[16:17]
	s_xor_b64 s[14:15], exec, s[14:15]
	s_cbranch_execz .LBB6_646
; %bb.645:
	v_mov_b32_e32 v0, 1
	ds_write_b32 v0, v0
	s_trap 2
.LBB6_646:
	s_or_b64 exec, exec, s[12:13]
	;;#ASMSTART
	s_wakeup
	;;#ASMEND
.LBB6_647:
	s_or_b64 exec, exec, s[10:11]
.LBB6_648:
	s_andn2_saveexec_b64 s[4:5], s[4:5]
	s_cbranch_execz .LBB6_650
; %bb.649:
	s_waitcnt lgkmcnt(0)
	buffer_wbinvl1_vol
	s_barrier
.LBB6_650:
	s_or_b64 exec, exec, s[6:7]
.LBB6_651:
	s_andn2_saveexec_b64 s[26:27], s[24:25]
	s_cbranch_execz .LBB6_653
; %bb.652:
	s_getpc_b64 s[4:5]
	s_add_u32 s4, s4, __PRETTY_FUNCTION__._ZN10PrimitivesIa7FuncSumIaE12FanSymmetricILi1EELi0E11ProtoSimpleILi2ELi2ELi0ELi4ELi0ELi0EELi0ELb0ELi0ELi0ELi0EEC2EiiPKiS8_PKvPvmhhhP15ncclDevWorkCollP14ncclDevWorkP2pii@rel32@lo+4
	s_addc_u32 s5, s5, __PRETTY_FUNCTION__._ZN10PrimitivesIa7FuncSumIaE12FanSymmetricILi1EELi0E11ProtoSimpleILi2ELi2ELi0ELi4ELi0ELi0EELi0ELb0ELi0ELi0ELi0EEC2EiiPKiS8_PKvPvmhhhP15ncclDevWorkCollP14ncclDevWorkP2pii@rel32@hi+12
	s_getpc_b64 s[6:7]
	s_add_u32 s6, s6, __assert_fail@rel32@lo+4
	s_addc_u32 s7, s7, __assert_fail@rel32@hi+12
	v_mov_b32_e32 v0, s4
	v_mov_b32_e32 v1, s5
	s_swappc_b64 s[30:31], s[6:7]
	; divergent unreachable
.LBB6_653:
	s_or_b64 exec, exec, s[26:27]
	buffer_load_dword v62, off, s[0:3], s33 ; 4-byte Folded Reload
	buffer_load_dword v61, off, s[0:3], s33 offset:4 ; 4-byte Folded Reload
	s_waitcnt lgkmcnt(0)
	buffer_load_dword v60, off, s[0:3], s33 offset:8 ; 4-byte Folded Reload
	buffer_load_dword v59, off, s[0:3], s33 offset:12 ; 4-byte Folded Reload
	;; [unrolled: 1-line block ×13, first 2 shown]
	v_readlane_b32 s30, v63, 17
	v_readlane_b32 s31, v63, 18
	;; [unrolled: 1-line block ×19, first 2 shown]
	s_mov_b32 s32, s33
	v_readlane_b32 s4, v63, 19
	s_or_saveexec_b64 s[6:7], -1
	buffer_load_dword v63, off, s[0:3], s33 offset:308 ; 4-byte Folded Reload
	s_mov_b64 exec, s[6:7]
	s_mov_b32 s33, s4
	s_waitcnt vmcnt(0)
	s_setpc_b64 s[30:31]
.Lfunc_end6:
	.size	_ZN12_GLOBAL__N_17runRingIa7FuncSumIaE11ProtoSimpleILi2ELi2ELi0ELi4ELi0ELi0EELi0ELi4ELi0EEEviiP15ncclDevWorkColl, .Lfunc_end6-_ZN12_GLOBAL__N_17runRingIa7FuncSumIaE11ProtoSimpleILi2ELi2ELi0ELi4ELi0ELi0EELi0ELi4ELi0EEEviiP15ncclDevWorkColl
                                        ; -- End function
	.set .L_ZN12_GLOBAL__N_17runRingIa7FuncSumIaE11ProtoSimpleILi2ELi2ELi0ELi4ELi0ELi0EELi0ELi4ELi0EEEviiP15ncclDevWorkColl.num_vgpr, max(64, .L__assert_fail.num_vgpr)
	.set .L_ZN12_GLOBAL__N_17runRingIa7FuncSumIaE11ProtoSimpleILi2ELi2ELi0ELi4ELi0ELi0EELi0ELi4ELi0EEEviiP15ncclDevWorkColl.num_agpr, max(0, .L__assert_fail.num_agpr)
	.set .L_ZN12_GLOBAL__N_17runRingIa7FuncSumIaE11ProtoSimpleILi2ELi2ELi0ELi4ELi0ELi0EELi0ELi4ELi0EEEviiP15ncclDevWorkColl.numbered_sgpr, max(96, .L__assert_fail.numbered_sgpr)
	.set .L_ZN12_GLOBAL__N_17runRingIa7FuncSumIaE11ProtoSimpleILi2ELi2ELi0ELi4ELi0ELi0EELi0ELi4ELi0EEEviiP15ncclDevWorkColl.num_named_barrier, max(0, .L__assert_fail.num_named_barrier)
	.set .L_ZN12_GLOBAL__N_17runRingIa7FuncSumIaE11ProtoSimpleILi2ELi2ELi0ELi4ELi0ELi0EELi0ELi4ELi0EEEviiP15ncclDevWorkColl.private_seg_size, 320+max(.L__assert_fail.private_seg_size)
	.set .L_ZN12_GLOBAL__N_17runRingIa7FuncSumIaE11ProtoSimpleILi2ELi2ELi0ELi4ELi0ELi0EELi0ELi4ELi0EEEviiP15ncclDevWorkColl.uses_vcc, or(1, .L__assert_fail.uses_vcc)
	.set .L_ZN12_GLOBAL__N_17runRingIa7FuncSumIaE11ProtoSimpleILi2ELi2ELi0ELi4ELi0ELi0EELi0ELi4ELi0EEEviiP15ncclDevWorkColl.uses_flat_scratch, or(0, .L__assert_fail.uses_flat_scratch)
	.set .L_ZN12_GLOBAL__N_17runRingIa7FuncSumIaE11ProtoSimpleILi2ELi2ELi0ELi4ELi0ELi0EELi0ELi4ELi0EEEviiP15ncclDevWorkColl.has_dyn_sized_stack, or(0, .L__assert_fail.has_dyn_sized_stack)
	.set .L_ZN12_GLOBAL__N_17runRingIa7FuncSumIaE11ProtoSimpleILi2ELi2ELi0ELi4ELi0ELi0EELi0ELi4ELi0EEEviiP15ncclDevWorkColl.has_recursion, or(1, .L__assert_fail.has_recursion)
	.set .L_ZN12_GLOBAL__N_17runRingIa7FuncSumIaE11ProtoSimpleILi2ELi2ELi0ELi4ELi0ELi0EELi0ELi4ELi0EEEviiP15ncclDevWorkColl.has_indirect_call, or(0, .L__assert_fail.has_indirect_call)
	.section	.AMDGPU.csdata,"",@progbits
; Function info:
; codeLenInByte = 26372
; TotalNumSgprs: 100
; NumVgprs: 64
; ScratchSize: 384
; MemoryBound: 0
	.text
	.p2align	2                               ; -- Begin function _Z50ncclDevFunc_AlltoAllPivot_RING_SIMPLE_Sum_i8_0_0_4v
	.type	_Z50ncclDevFunc_AlltoAllPivot_RING_SIMPLE_Sum_i8_0_0_4v,@function
_Z50ncclDevFunc_AlltoAllPivot_RING_SIMPLE_Sum_i8_0_0_4v: ; @_Z50ncclDevFunc_AlltoAllPivot_RING_SIMPLE_Sum_i8_0_0_4v
; %bb.0:
	s_waitcnt vmcnt(0) expcnt(0) lgkmcnt(0)
	s_mov_b32 s4, s33
	s_mov_b32 s33, s32
	s_or_saveexec_b64 s[6:7], -1
	buffer_store_dword v43, off, s[0:3], s33 offset:16 ; 4-byte Folded Spill
	s_mov_b64 exec, s[6:7]
	v_writelane_b32 v43, s4, 25
	s_addk_i32 s32, 0x800
	buffer_store_dword v40, off, s[0:3], s33 offset:12 ; 4-byte Folded Spill
	buffer_store_dword v41, off, s[0:3], s33 offset:8 ; 4-byte Folded Spill
	;; [unrolled: 1-line block ×3, first 2 shown]
	buffer_store_dword v63, off, s[0:3], s33 ; 4-byte Folded Spill
	v_writelane_b32 v43, s34, 0
	v_writelane_b32 v43, s35, 1
	;; [unrolled: 1-line block ×25, first 2 shown]
	s_trap 2
	ds_read_b32 v0, v0
	v_mov_b32_e32 v40, v31
	s_mov_b32 s67, s12
	s_mov_b64 s[68:69], s[8:9]
	s_waitcnt lgkmcnt(0)
	v_cmp_gt_i32_e32 vcc, 1, v0
	s_cbranch_vccnz .LBB7_8
; %bb.1:
	s_mov_b32 s80, 0
	v_and_b32_e32 v41, 0x3ff, v40
	v_mov_b32_e32 v42, 6
	s_branch .LBB7_3
.LBB7_2:                                ;   in Loop: Header=BB7_3 Depth=1
	s_or_b64 exec, exec, s[70:71]
	s_trap 2
	ds_read_b32 v0, v0
	s_add_i32 s80, s80, 1
	s_waitcnt lgkmcnt(0)
	v_cmp_lt_i32_e32 vcc, s80, v0
	s_cbranch_vccz .LBB7_8
.LBB7_3:                                ; =>This Inner Loop Header: Depth=1
	s_trap 2
	ds_read_b32 v0, v0
	s_cmp_eq_u32 s80, 0
	s_cbranch_scc1 .LBB7_6
; %bb.4:                                ;   in Loop: Header=BB7_3 Depth=1
	s_trap 2
	s_waitcnt lgkmcnt(0)
	ds_read_b32 v1, v0
	s_waitcnt lgkmcnt(0)
	v_xor_b32_e32 v1, v1, v0
	v_and_b32_e32 v1, 0xff0000, v1
	v_cmp_eq_u32_e32 vcc, 0, v1
	s_cbranch_vccnz .LBB7_6
; %bb.5:                                ;   in Loop: Header=BB7_3 Depth=1
	s_waitcnt vmcnt(0)
	s_barrier
	ds_read_b32 v0, v0
.LBB7_6:                                ;   in Loop: Header=BB7_3 Depth=1
	s_waitcnt lgkmcnt(0)
	v_lshlrev_b32_sdwa v1, v42, v0 dst_sel:DWORD dst_unused:UNUSED_PAD src0_sel:DWORD src1_sel:BYTE_2
	v_cmp_lt_u32_e32 vcc, v41, v1
	s_and_saveexec_b64 s[70:71], vcc
	s_cbranch_execz .LBB7_2
; %bb.7:                                ;   in Loop: Header=BB7_3 Depth=1
	s_mov_b64 s[4:5], src_shared_base
	s_getpc_b64 s[6:7]
	s_add_u32 s6, s6, _ZN12_GLOBAL__N_17runRingIa7FuncSumIaE11ProtoSimpleILi2ELi2ELi0ELi4ELi0ELi0EELi0ELi4ELi0EEEviiP15ncclDevWorkColl@rel32@lo+4
	s_addc_u32 s7, s7, _ZN12_GLOBAL__N_17runRingIa7FuncSumIaE11ProtoSimpleILi2ELi2ELi0ELi4ELi0ELi0EELi0ELi4ELi0EEEviiP15ncclDevWorkColl@rel32@hi+12
	s_mov_b64 s[8:9], s[68:69]
	s_mov_b32 s12, s67
	v_mov_b32_e32 v31, v40
	v_mov_b32_e32 v0, v41
	;; [unrolled: 1-line block ×3, first 2 shown]
	s_swappc_b64 s[30:31], s[6:7]
	s_branch .LBB7_2
.LBB7_8:
	buffer_load_dword v63, off, s[0:3], s33 ; 4-byte Folded Reload
	buffer_load_dword v42, off, s[0:3], s33 offset:4 ; 4-byte Folded Reload
	buffer_load_dword v41, off, s[0:3], s33 offset:8 ; 4-byte Folded Reload
	;; [unrolled: 1-line block ×3, first 2 shown]
	v_readlane_b32 s30, v43, 23
	v_readlane_b32 s31, v43, 24
	;; [unrolled: 1-line block ×25, first 2 shown]
	s_mov_b32 s32, s33
	v_readlane_b32 s4, v43, 25
	s_or_saveexec_b64 s[6:7], -1
	buffer_load_dword v43, off, s[0:3], s33 offset:16 ; 4-byte Folded Reload
	s_mov_b64 exec, s[6:7]
	s_mov_b32 s33, s4
	s_waitcnt vmcnt(0)
	s_setpc_b64 s[30:31]
.Lfunc_end7:
	.size	_Z50ncclDevFunc_AlltoAllPivot_RING_SIMPLE_Sum_i8_0_0_4v, .Lfunc_end7-_Z50ncclDevFunc_AlltoAllPivot_RING_SIMPLE_Sum_i8_0_0_4v
                                        ; -- End function
	.set .L_Z50ncclDevFunc_AlltoAllPivot_RING_SIMPLE_Sum_i8_0_0_4v.num_vgpr, max(64, .L_ZN12_GLOBAL__N_17runRingIa7FuncSumIaE11ProtoSimpleILi2ELi2ELi0ELi4ELi0ELi0EELi0ELi4ELi0EEEviiP15ncclDevWorkColl.num_vgpr)
	.set .L_Z50ncclDevFunc_AlltoAllPivot_RING_SIMPLE_Sum_i8_0_0_4v.num_agpr, max(0, .L_ZN12_GLOBAL__N_17runRingIa7FuncSumIaE11ProtoSimpleILi2ELi2ELi0ELi4ELi0ELi0EELi0ELi4ELi0EEEviiP15ncclDevWorkColl.num_agpr)
	.set .L_Z50ncclDevFunc_AlltoAllPivot_RING_SIMPLE_Sum_i8_0_0_4v.numbered_sgpr, max(81, .L_ZN12_GLOBAL__N_17runRingIa7FuncSumIaE11ProtoSimpleILi2ELi2ELi0ELi4ELi0ELi0EELi0ELi4ELi0EEEviiP15ncclDevWorkColl.numbered_sgpr)
	.set .L_Z50ncclDevFunc_AlltoAllPivot_RING_SIMPLE_Sum_i8_0_0_4v.num_named_barrier, max(0, .L_ZN12_GLOBAL__N_17runRingIa7FuncSumIaE11ProtoSimpleILi2ELi2ELi0ELi4ELi0ELi0EELi0ELi4ELi0EEEviiP15ncclDevWorkColl.num_named_barrier)
	.set .L_Z50ncclDevFunc_AlltoAllPivot_RING_SIMPLE_Sum_i8_0_0_4v.private_seg_size, 32+max(.L_ZN12_GLOBAL__N_17runRingIa7FuncSumIaE11ProtoSimpleILi2ELi2ELi0ELi4ELi0ELi0EELi0ELi4ELi0EEEviiP15ncclDevWorkColl.private_seg_size)
	.set .L_Z50ncclDevFunc_AlltoAllPivot_RING_SIMPLE_Sum_i8_0_0_4v.uses_vcc, or(1, .L_ZN12_GLOBAL__N_17runRingIa7FuncSumIaE11ProtoSimpleILi2ELi2ELi0ELi4ELi0ELi0EELi0ELi4ELi0EEEviiP15ncclDevWorkColl.uses_vcc)
	.set .L_Z50ncclDevFunc_AlltoAllPivot_RING_SIMPLE_Sum_i8_0_0_4v.uses_flat_scratch, or(0, .L_ZN12_GLOBAL__N_17runRingIa7FuncSumIaE11ProtoSimpleILi2ELi2ELi0ELi4ELi0ELi0EELi0ELi4ELi0EEEviiP15ncclDevWorkColl.uses_flat_scratch)
	.set .L_Z50ncclDevFunc_AlltoAllPivot_RING_SIMPLE_Sum_i8_0_0_4v.has_dyn_sized_stack, or(0, .L_ZN12_GLOBAL__N_17runRingIa7FuncSumIaE11ProtoSimpleILi2ELi2ELi0ELi4ELi0ELi0EELi0ELi4ELi0EEEviiP15ncclDevWorkColl.has_dyn_sized_stack)
	.set .L_Z50ncclDevFunc_AlltoAllPivot_RING_SIMPLE_Sum_i8_0_0_4v.has_recursion, or(1, .L_ZN12_GLOBAL__N_17runRingIa7FuncSumIaE11ProtoSimpleILi2ELi2ELi0ELi4ELi0ELi0EELi0ELi4ELi0EEEviiP15ncclDevWorkColl.has_recursion)
	.set .L_Z50ncclDevFunc_AlltoAllPivot_RING_SIMPLE_Sum_i8_0_0_4v.has_indirect_call, or(0, .L_ZN12_GLOBAL__N_17runRingIa7FuncSumIaE11ProtoSimpleILi2ELi2ELi0ELi4ELi0ELi0EELi0ELi4ELi0EEEviiP15ncclDevWorkColl.has_indirect_call)
	.section	.AMDGPU.csdata,"",@progbits
; Function info:
; codeLenInByte = 784
; TotalNumSgprs: 100
; NumVgprs: 64
; ScratchSize: 416
; MemoryBound: 0
	.section	.AMDGPU.gpr_maximums,"",@progbits
	.set amdgpu.max_num_vgpr, 64
	.set amdgpu.max_num_agpr, 0
	.set amdgpu.max_num_sgpr, 96
	.section	.AMDGPU.csdata,"",@progbits
	.type	__const.__assert_fail.fmt,@object ; @__const.__assert_fail.fmt
	.section	.rodata.str1.16,"aMS",@progbits,1
	.p2align	4, 0x0
__const.__assert_fail.fmt:
	.asciz	"%s:%u: %s: Device-side assertion `%s' failed.\n"
	.size	__const.__assert_fail.fmt, 47

	.type	.str.3,@object                  ; @.str.3
	.section	.rodata.str1.1,"aMS",@progbits,1
.str.3:
	.asciz	"2*(nrecv+nsend) <= nthreads"
	.size	.str.3, 28

	.type	.str.4,@object                  ; @.str.4
.str.4:
	.asciz	"/root/src/amdgpu-assembly/repos/ROCm__rccl/hipify/src/device/prims_simple.h"
	.size	.str.4, 76

	.type	__PRETTY_FUNCTION__._ZN10PrimitivesIa7FuncSumIaE12FanSymmetricILi1EELi0E11ProtoSimpleILi2ELi2ELi0ELi1ELi0ELi0EELi0ELb0ELi0ELi0ELi0EEC2EiiPKiS8_PKvPvmhhhP15ncclDevWorkCollP14ncclDevWorkP2pii,@object ; @__PRETTY_FUNCTION__._ZN10PrimitivesIa7FuncSumIaE12FanSymmetricILi1EELi0E11ProtoSimpleILi2ELi2ELi0ELi1ELi0ELi0EELi0ELb0ELi0ELi0ELi0EEC2EiiPKiS8_PKvPvmhhhP15ncclDevWorkCollP14ncclDevWorkP2pii
__PRETTY_FUNCTION__._ZN10PrimitivesIa7FuncSumIaE12FanSymmetricILi1EELi0E11ProtoSimpleILi2ELi2ELi0ELi1ELi0ELi0EELi0ELb0ELi0ELi0ELi0EEC2EiiPKiS8_PKvPvmhhhP15ncclDevWorkCollP14ncclDevWorkP2pii:
	.asciz	"Primitives<signed char, FuncSum<signed char>, FanSymmetric<1>, 0, ProtoSimple<2, 2, 0, 1>, 0>::Primitives(int, int, const int *, const int *, const void *, void *, uint64_t, uint8_t, uint8_t, uint8_t, struct ncclDevWorkColl *, struct ncclDevWorkP2p *, int, int) [T = signed char, RedOp = FuncSum<signed char>, Fan = FanSymmetric<1>, Direct = 0, Proto = ProtoSimple<2, 2, 0, 1>, P2p = 0, isNetOffload = false, Metadata = 0, Pipeline = 0, useAcc = 0]"
	.size	__PRETTY_FUNCTION__._ZN10PrimitivesIa7FuncSumIaE12FanSymmetricILi1EELi0E11ProtoSimpleILi2ELi2ELi0ELi1ELi0ELi0EELi0ELb0ELi0ELi0ELi0EEC2EiiPKiS8_PKvPvmhhhP15ncclDevWorkCollP14ncclDevWorkP2pii, 449

	.type	__PRETTY_FUNCTION__._ZN10PrimitivesIa7FuncSumIaE12FanSymmetricILi1EELi0E11ProtoSimpleILi2ELi2ELi0ELi2ELi0ELi0EELi0ELb0ELi0ELi0ELi0EEC2EiiPKiS8_PKvPvmhhhP15ncclDevWorkCollP14ncclDevWorkP2pii,@object ; @__PRETTY_FUNCTION__._ZN10PrimitivesIa7FuncSumIaE12FanSymmetricILi1EELi0E11ProtoSimpleILi2ELi2ELi0ELi2ELi0ELi0EELi0ELb0ELi0ELi0ELi0EEC2EiiPKiS8_PKvPvmhhhP15ncclDevWorkCollP14ncclDevWorkP2pii
__PRETTY_FUNCTION__._ZN10PrimitivesIa7FuncSumIaE12FanSymmetricILi1EELi0E11ProtoSimpleILi2ELi2ELi0ELi2ELi0ELi0EELi0ELb0ELi0ELi0ELi0EEC2EiiPKiS8_PKvPvmhhhP15ncclDevWorkCollP14ncclDevWorkP2pii:
	.asciz	"Primitives<signed char, FuncSum<signed char>, FanSymmetric<1>, 0, ProtoSimple<2, 2, 0, 2>, 0>::Primitives(int, int, const int *, const int *, const void *, void *, uint64_t, uint8_t, uint8_t, uint8_t, struct ncclDevWorkColl *, struct ncclDevWorkP2p *, int, int) [T = signed char, RedOp = FuncSum<signed char>, Fan = FanSymmetric<1>, Direct = 0, Proto = ProtoSimple<2, 2, 0, 2>, P2p = 0, isNetOffload = false, Metadata = 0, Pipeline = 0, useAcc = 0]"
	.size	__PRETTY_FUNCTION__._ZN10PrimitivesIa7FuncSumIaE12FanSymmetricILi1EELi0E11ProtoSimpleILi2ELi2ELi0ELi2ELi0ELi0EELi0ELb0ELi0ELi0ELi0EEC2EiiPKiS8_PKvPvmhhhP15ncclDevWorkCollP14ncclDevWorkP2pii, 449

	.type	__PRETTY_FUNCTION__._ZN10PrimitivesIa7FuncSumIaE12FanSymmetricILi1EELi0E11ProtoSimpleILi2ELi2ELi0ELi4ELi0ELi0EELi0ELb0ELi0ELi0ELi0EEC2EiiPKiS8_PKvPvmhhhP15ncclDevWorkCollP14ncclDevWorkP2pii,@object ; @__PRETTY_FUNCTION__._ZN10PrimitivesIa7FuncSumIaE12FanSymmetricILi1EELi0E11ProtoSimpleILi2ELi2ELi0ELi4ELi0ELi0EELi0ELb0ELi0ELi0ELi0EEC2EiiPKiS8_PKvPvmhhhP15ncclDevWorkCollP14ncclDevWorkP2pii
__PRETTY_FUNCTION__._ZN10PrimitivesIa7FuncSumIaE12FanSymmetricILi1EELi0E11ProtoSimpleILi2ELi2ELi0ELi4ELi0ELi0EELi0ELb0ELi0ELi0ELi0EEC2EiiPKiS8_PKvPvmhhhP15ncclDevWorkCollP14ncclDevWorkP2pii:
	.asciz	"Primitives<signed char, FuncSum<signed char>, FanSymmetric<1>, 0, ProtoSimple<2, 2, 0, 4>, 0>::Primitives(int, int, const int *, const int *, const void *, void *, uint64_t, uint8_t, uint8_t, uint8_t, struct ncclDevWorkColl *, struct ncclDevWorkP2p *, int, int) [T = signed char, RedOp = FuncSum<signed char>, Fan = FanSymmetric<1>, Direct = 0, Proto = ProtoSimple<2, 2, 0, 4>, P2p = 0, isNetOffload = false, Metadata = 0, Pipeline = 0, useAcc = 0]"
	.size	__PRETTY_FUNCTION__._ZN10PrimitivesIa7FuncSumIaE12FanSymmetricILi1EELi0E11ProtoSimpleILi2ELi2ELi0ELi4ELi0ELi0EELi0ELb0ELi0ELi0ELi0EEC2EiiPKiS8_PKvPvmhhhP15ncclDevWorkCollP14ncclDevWorkP2pii, 449

	.type	__hip_cuid_b71ec98c640a53df,@object ; @__hip_cuid_b71ec98c640a53df
	.section	.bss,"aw",@nobits
	.globl	__hip_cuid_b71ec98c640a53df
__hip_cuid_b71ec98c640a53df:
	.byte	0                               ; 0x0
	.size	__hip_cuid_b71ec98c640a53df, 1

	.ident	"AMD clang version 22.0.0git (https://github.com/RadeonOpenCompute/llvm-project roc-7.2.4 26084 f58b06dce1f9c15707c5f808fd002e18c2accf7e)"
	.section	".note.GNU-stack","",@progbits
	.addrsig
	.addrsig_sym _Z50ncclDevFunc_AlltoAllPivot_RING_SIMPLE_Sum_i8_0_0_1v
	.addrsig_sym _Z50ncclDevFunc_AlltoAllPivot_RING_SIMPLE_Sum_i8_0_0_2v
	.addrsig_sym _Z50ncclDevFunc_AlltoAllPivot_RING_SIMPLE_Sum_i8_0_0_4v
	.addrsig_sym ncclShmem
	.addrsig_sym __hip_cuid_b71ec98c640a53df
	.amdgpu_metadata
---
amdhsa.kernels:  []
amdhsa.target:   amdgcn-amd-amdhsa--gfx906
amdhsa.version:
  - 1
  - 2
...

	.end_amdgpu_metadata
